;; amdgpu-corpus repo=ggml-org/llama.cpp kind=compiled arch=gfx1100 opt=O3
	.text
	.amdgcn_target "amdgcn-amd-amdhsa--gfx1100"
	.amdhsa_code_object_version 6
	.section	.text._ZL13mm_ids_helperILi2EEvPKiPiS2_S2_iiiii,"axG",@progbits,_ZL13mm_ids_helperILi2EEvPKiPiS2_S2_iiiii,comdat
	.globl	_ZL13mm_ids_helperILi2EEvPKiPiS2_S2_iiiii ; -- Begin function _ZL13mm_ids_helperILi2EEvPKiPiS2_S2_iiiii
	.p2align	8
	.type	_ZL13mm_ids_helperILi2EEvPKiPiS2_S2_iiiii,@function
_ZL13mm_ids_helperILi2EEvPKiPiS2_S2_iiiii: ; @_ZL13mm_ids_helperILi2EEvPKiPiS2_S2_iiiii
; %bb.0:
	s_clause 0x1
	s_load_b32 s19, s[0:1], 0x20
	s_load_b128 s[20:23], s[0:1], 0x28
	v_mbcnt_lo_u32_b32 v4, -1, 0
	s_mov_b32 s18, s15
	s_mov_b32 s2, 0
	s_waitcnt lgkmcnt(0)
	s_cmp_gt_i32 s19, 0
	s_cbranch_scc1 .LBB0_2
; %bb.1:
	v_mbcnt_lo_u32_b32 v1, -1, 0
	v_mov_b32_e32 v6, 0
	s_mov_b32 s3, 0
	s_delay_alu instid0(VALU_DEP_2)
	v_xor_b32_e32 v3, 1, v1
	s_branch .LBB0_3
.LBB0_2:
	s_mov_b32 s2, -1
                                        ; implicit-def: $sgpr3
                                        ; implicit-def: $vgpr1
                                        ; implicit-def: $vgpr6
                                        ; implicit-def: $vgpr3
.LBB0_3:
	s_clause 0x1
	s_load_b128 s[24:27], s[0:1], 0x8
	s_load_b64 s[28:29], s[0:1], 0x18
	v_mov_b32_e32 v15, s3
	v_mov_b32_e32 v5, s3
	s_and_not1_b32 vcc_lo, exec_lo, s2
	s_cbranch_vccnz .LBB0_11
; %bb.4:
	v_dual_mov_b32 v6, 0 :: v_dual_and_b32 v1, 30, v4
	v_xor_b32_e32 v3, 1, v4
	v_add_nc_u32_e32 v12, -4, v4
	v_and_b32_e32 v5, 1, v0
	s_delay_alu instid0(VALU_DEP_4) | instskip(SKIP_3) | instid1(VALU_DEP_3)
	v_dual_mov_b32 v8, 0x7c :: v_dual_add_nc_u32 v1, 2, v1
	v_add_nc_u32_e32 v14, -8, v4
	v_add_nc_u32_e32 v15, -12, v4
	s_load_b64 s[30:31], s[0:1], 0x0
	v_cmp_lt_i32_e32 vcc_lo, v3, v1
	v_add_nc_u32_e32 v2, -2, v4
	v_cmp_gt_i32_e64 s3, 0, v14
	v_cmp_gt_i32_e64 s5, 0, v15
	v_lshrrev_b32_e32 v7, 1, v0
	v_cndmask_b32_e32 v1, v4, v3, vcc_lo
	v_cmp_gt_i32_e32 vcc_lo, 0, v2
	v_cmp_gt_u32_e64 s8, 16, v0
	v_cmp_gt_u32_e64 s11, 22, v0
	;; [unrolled: 1-line block ×3, first 2 shown]
	v_lshlrev_b32_e32 v10, 2, v1
	v_dual_cndmask_b32 v2, v2, v4 :: v_dual_lshlrev_b32 v9, 22, v5
	v_add_nc_u32_e32 v1, -6, v4
	v_cmp_gt_i32_e32 vcc_lo, 0, v12
	v_cmp_gt_u32_e64 s14, 28, v0
	s_delay_alu instid0(VALU_DEP_4)
	v_lshlrev_b32_e32 v11, 2, v2
	v_cmp_gt_u32_e64 s15, 30, v0
	v_cmp_gt_i32_e64 s2, 0, v1
	v_cndmask_b32_e32 v2, v12, v4, vcc_lo
	v_cmp_gt_u32_e32 vcc_lo, 2, v0
	s_mov_b32 s23, 0
	s_delay_alu instid0(VALU_DEP_3) | instskip(NEXT) | instid1(VALU_DEP_3)
	v_cndmask_b32_e64 v1, v1, v4, s2
	v_lshlrev_b32_e32 v12, 2, v2
	v_add_nc_u32_e32 v2, -10, v4
	v_cmp_gt_u32_e64 s2, 4, v0
	s_delay_alu instid0(VALU_DEP_4) | instskip(SKIP_1) | instid1(VALU_DEP_4)
	v_lshlrev_b32_e32 v13, 2, v1
	v_cndmask_b32_e64 v1, v14, v4, s3
	v_cmp_gt_i32_e64 s4, 0, v2
	v_cmp_gt_u32_e64 s3, 6, v0
	s_delay_alu instid0(VALU_DEP_3) | instskip(NEXT) | instid1(VALU_DEP_3)
	v_lshlrev_b32_e32 v14, 2, v1
	v_cndmask_b32_e64 v2, v2, v4, s4
	v_add_nc_u32_e32 v1, -14, v4
	v_cmp_gt_u32_e64 s4, 8, v0
	s_delay_alu instid0(VALU_DEP_3) | instskip(SKIP_1) | instid1(VALU_DEP_4)
	v_lshlrev_b32_e32 v16, 2, v2
	v_cndmask_b32_e64 v2, v15, v4, s5
	v_cmp_gt_i32_e64 s6, 0, v1
	v_add_nc_u32_e32 v15, -16, v4
	v_cmp_gt_u32_e64 s5, 10, v0
	s_delay_alu instid0(VALU_DEP_4) | instskip(NEXT) | instid1(VALU_DEP_4)
	v_lshlrev_b32_e32 v17, 2, v2
	v_cndmask_b32_e64 v1, v1, v4, s6
	v_subrev_nc_u32_e32 v2, 18, v4
	v_cmp_gt_i32_e64 s7, 0, v15
	v_cmp_gt_u32_e64 s6, 12, v0
	s_delay_alu instid0(VALU_DEP_4) | instskip(NEXT) | instid1(VALU_DEP_3)
	v_lshlrev_b32_e32 v18, 2, v1
	v_cndmask_b32_e64 v1, v15, v4, s7
	v_cmp_gt_i32_e64 s7, 0, v2
	v_subrev_nc_u32_e32 v15, 20, v4
	s_delay_alu instid0(VALU_DEP_3) | instskip(NEXT) | instid1(VALU_DEP_3)
	v_lshlrev_b32_e32 v19, 2, v1
	v_cndmask_b32_e64 v2, v2, v4, s7
	v_subrev_nc_u32_e32 v1, 22, v4
	s_delay_alu instid0(VALU_DEP_4) | instskip(SKIP_1) | instid1(VALU_DEP_4)
	v_cmp_gt_i32_e64 s9, 0, v15
	v_cmp_gt_u32_e64 s7, 14, v0
	v_lshlrev_b32_e32 v20, 2, v2
	s_delay_alu instid0(VALU_DEP_4) | instskip(NEXT) | instid1(VALU_DEP_4)
	v_cmp_gt_i32_e64 s10, 0, v1
	v_cndmask_b32_e64 v2, v15, v4, s9
	v_subrev_nc_u32_e32 v15, 24, v4
	v_cmp_gt_u32_e64 s9, 18, v0
	s_delay_alu instid0(VALU_DEP_4) | instskip(NEXT) | instid1(VALU_DEP_4)
	v_cndmask_b32_e64 v1, v1, v4, s10
	v_lshlrev_b32_e32 v21, 2, v2
	s_delay_alu instid0(VALU_DEP_4) | instskip(NEXT) | instid1(VALU_DEP_3)
	v_cmp_gt_i32_e64 s10, 0, v15
	v_lshlrev_b32_e32 v22, 2, v1
	v_subrev_nc_u32_e32 v1, 26, v4
	s_delay_alu instid0(VALU_DEP_3) | instskip(SKIP_2) | instid1(VALU_DEP_4)
	v_cndmask_b32_e64 v2, v15, v4, s10
	v_subrev_nc_u32_e32 v15, 30, v4
	v_cmp_gt_u32_e64 s10, 20, v0
	v_cmp_gt_i32_e64 s13, 0, v1
	s_delay_alu instid0(VALU_DEP_4) | instskip(SKIP_1) | instid1(VALU_DEP_3)
	v_lshlrev_b32_e32 v23, 2, v2
	v_subrev_nc_u32_e32 v2, 28, v4
	v_cndmask_b32_e64 v1, v1, v4, s13
	s_delay_alu instid0(VALU_DEP_2) | instskip(NEXT) | instid1(VALU_DEP_2)
	v_cmp_gt_i32_e64 s13, 0, v2
	v_lshlrev_b32_e32 v24, 2, v1
	s_delay_alu instid0(VALU_DEP_2) | instskip(SKIP_1) | instid1(VALU_DEP_2)
	v_cndmask_b32_e64 v2, v2, v4, s13
	v_cmp_gt_i32_e64 s13, 0, v15
	v_lshlrev_b32_e32 v25, 2, v2
	s_delay_alu instid0(VALU_DEP_2) | instskip(SKIP_2) | instid1(VALU_DEP_3)
	v_cndmask_b32_e64 v15, v15, v4, s13
	v_mad_u64_u32 v[1:2], null, s21, v7, v[5:6]
	v_cmp_gt_u32_e64 s13, 26, v0
	v_dual_mov_b32 v5, 0 :: v_dual_lshlrev_b32 v26, 2, v15
	v_mov_b32_e32 v15, 0
	s_lshl_b32 s21, s21, 4
	s_branch .LBB0_6
.LBB0_5:                                ;   in Loop: Header=BB0_6 Depth=1
	s_or_b32 exec_lo, exec_lo, s17
	s_delay_alu instid0(VALU_DEP_1) | instskip(SKIP_3) | instid1(SALU_CYCLE_1)
	v_add_nc_u32_e32 v27, v29, v28
	v_cmp_gt_i32_e64 s16, s18, v2
	v_add_nc_u32_e32 v1, s21, v1
	s_add_i32 s23, s23, 16
	s_cmp_ge_i32 s23, s19
	ds_bpermute_b32 v27, v8, v27
	v_add_co_ci_u32_e64 v15, s16, 0, v15, s16
	s_waitcnt lgkmcnt(0)
	v_add_nc_u32_e32 v5, v27, v5
	s_cbranch_scc1 .LBB0_10
.LBB0_6:                                ; =>This Inner Loop Header: Depth=1
	v_add_nc_u32_e32 v27, s23, v7
	v_bfrev_b32_e32 v2, -2
	s_mov_b32 s17, exec_lo
	s_delay_alu instid0(VALU_DEP_2)
	v_cmpx_gt_i32_e64 s19, v27
	s_cbranch_execz .LBB0_8
; %bb.7:                                ;   in Loop: Header=BB0_6 Depth=1
	v_ashrrev_i32_e32 v2, 31, v1
	s_delay_alu instid0(VALU_DEP_1) | instskip(SKIP_1) | instid1(VALU_DEP_1)
	v_lshlrev_b64 v[28:29], 2, v[1:2]
	s_waitcnt lgkmcnt(0)
	v_add_co_u32 v28, s16, s30, v28
	s_delay_alu instid0(VALU_DEP_1)
	v_add_co_ci_u32_e64 v29, s16, s31, v29, s16
	global_load_b32 v2, v[28:29], off
.LBB0_8:                                ;   in Loop: Header=BB0_6 Depth=1
	s_or_b32 exec_lo, exec_lo, s17
	s_waitcnt vmcnt(0)
	v_cmp_eq_u32_e64 s16, s18, v2
	s_delay_alu instid0(VALU_DEP_1) | instskip(SKIP_3) | instid1(VALU_DEP_1)
	v_cndmask_b32_e64 v28, 0, 1, s16
	ds_bpermute_b32 v29, v10, v28
	s_waitcnt lgkmcnt(0)
	v_or_b32_e32 v28, v29, v28
	v_cmp_ne_u32_e64 s17, 0, v28
	s_delay_alu instid0(VALU_DEP_1)
	v_cndmask_b32_e64 v28, 0, 1, s17
	ds_bpermute_b32 v29, v11, v28
	ds_bpermute_b32 v30, v12, v28
	;; [unrolled: 1-line block ×13, first 2 shown]
	s_waitcnt lgkmcnt(12)
	v_cndmask_b32_e64 v29, v29, 0, vcc_lo
	s_waitcnt lgkmcnt(11)
	v_cndmask_b32_e64 v30, v30, 0, s2
	s_waitcnt lgkmcnt(10)
	v_cndmask_b32_e64 v31, v31, 0, s3
	;; [unrolled: 2-line block ×4, first 2 shown]
	v_add3_u32 v29, v30, v29, v31
	ds_bpermute_b32 v30, v25, v28
	s_waitcnt lgkmcnt(8)
	v_cndmask_b32_e64 v31, v34, 0, s6
	s_waitcnt lgkmcnt(7)
	v_cndmask_b32_e64 v34, v35, 0, s7
	;; [unrolled: 2-line block ×3, first 2 shown]
	v_add3_u32 v29, v32, v29, v33
	ds_bpermute_b32 v32, v26, v28
	v_cndmask_b32_e64 v33, v36, 0, s8
	v_add3_u32 v29, v31, v29, v34
	s_waitcnt lgkmcnt(5)
	v_cndmask_b32_e64 v31, v38, 0, s10
	s_waitcnt lgkmcnt(4)
	v_cndmask_b32_e64 v34, v39, 0, s11
	v_add3_u32 v29, v33, v29, v35
	s_waitcnt lgkmcnt(3)
	v_cndmask_b32_e64 v33, v40, 0, s12
	s_waitcnt lgkmcnt(2)
	v_cndmask_b32_e64 v35, v41, 0, s13
	v_add3_u32 v29, v31, v29, v34
	s_waitcnt lgkmcnt(1)
	v_cndmask_b32_e64 v30, v30, 0, s14
	s_delay_alu instid0(VALU_DEP_2) | instskip(SKIP_2) | instid1(VALU_DEP_1)
	v_add3_u32 v29, v33, v29, v35
	s_waitcnt lgkmcnt(0)
	v_cndmask_b32_e64 v31, v32, 0, s15
	v_add3_u32 v29, v30, v29, v31
	s_and_saveexec_b32 s17, s16
	s_cbranch_execz .LBB0_5
; %bb.9:                                ;   in Loop: Header=BB0_6 Depth=1
	v_lshlrev_b32_e32 v30, 2, v5
	s_delay_alu instid0(VALU_DEP_2) | instskip(SKIP_1) | instid1(VALU_DEP_2)
	v_lshlrev_b32_e32 v31, 2, v29
	v_and_or_b32 v27, 0x3fffff, v27, v9
	v_add3_u32 v30, 0, v30, v31
	ds_store_b32 v30, v27
	s_branch .LBB0_5
.LBB0_10:
	v_mov_b32_e32 v1, v4
.LBB0_11:
	v_add_nc_u32_e32 v4, 32, v6
	s_delay_alu instid0(VALU_DEP_2) | instskip(SKIP_3) | instid1(VALU_DEP_3)
	v_xor_b32_e32 v2, 16, v1
	v_xor_b32_e32 v6, 8, v1
	;; [unrolled: 1-line block ×3, first 2 shown]
	s_mov_b32 s3, exec_lo
	v_cmp_lt_i32_e32 vcc_lo, v2, v4
	v_cndmask_b32_e32 v2, v1, v2, vcc_lo
	v_cmp_lt_i32_e32 vcc_lo, v6, v4
	s_delay_alu instid0(VALU_DEP_2)
	v_lshlrev_b32_e32 v2, 2, v2
	ds_bpermute_b32 v2, v2, v15
	v_cndmask_b32_e32 v6, v1, v6, vcc_lo
	v_cmp_lt_i32_e32 vcc_lo, v8, v4
	s_waitcnt lgkmcnt(0)
	v_add_nc_u32_e32 v7, v2, v15
	s_delay_alu instid0(VALU_DEP_3) | instskip(SKIP_3) | instid1(VALU_DEP_1)
	v_lshlrev_b32_e32 v6, 2, v6
	ds_bpermute_b32 v6, v6, v7
	s_waitcnt lgkmcnt(0)
	v_dual_cndmask_b32 v8, v1, v8 :: v_dual_add_nc_u32 v9, v6, v7
	v_lshlrev_b32_e32 v8, 2, v8
	ds_bpermute_b32 v7, v8, v9
	v_xor_b32_e32 v8, 2, v1
	s_delay_alu instid0(VALU_DEP_1)
	v_cmp_lt_i32_e32 vcc_lo, v8, v4
	v_cndmask_b32_e32 v8, v1, v8, vcc_lo
	v_cmp_lt_i32_e32 vcc_lo, v3, v4
	v_cndmask_b32_e32 v1, v1, v3, vcc_lo
	s_waitcnt lgkmcnt(0)
	v_add_nc_u32_e32 v9, v7, v9
	s_delay_alu instid0(VALU_DEP_2)
	v_lshlrev_b32_e32 v1, 2, v1
	v_lshlrev_b32_e32 v8, 2, v8
	ds_bpermute_b32 v8, v8, v9
	s_waitcnt lgkmcnt(0)
	v_add_nc_u32_e32 v3, v8, v9
	ds_bpermute_b32 v4, v1, v3
	v_cmpx_lt_i32_e64 v0, v5
	s_cbranch_execz .LBB0_14
; %bb.12:
	s_abs_i32 s4, s20
	v_add3_u32 v2, v2, v6, v7
	v_cvt_f32_u32_e32 v1, s4
	s_sub_i32 s2, 0, s4
	v_lshl_add_u32 v6, v0, 2, 0
	s_mov_b32 s5, 0
	s_delay_alu instid0(VALU_DEP_2) | instskip(SKIP_2) | instid1(VALU_DEP_1)
	v_rcp_iflag_f32_e32 v1, v1
	s_waitcnt_depctr 0xfff
	v_mul_f32_e32 v1, 0x4f7ffffe, v1
	v_cvt_u32_f32_e32 v9, v1
	s_delay_alu instid0(VALU_DEP_1) | instskip(NEXT) | instid1(VALU_DEP_1)
	v_mul_lo_u32 v1, s2, v9
	v_mul_hi_u32 v7, v9, v1
	s_waitcnt lgkmcnt(0)
	v_add3_u32 v1, v2, v8, v4
	v_mov_b32_e32 v8, v0
	s_delay_alu instid0(VALU_DEP_2) | instskip(NEXT) | instid1(VALU_DEP_4)
	v_add3_u32 v1, v1, v0, v15
	v_add_nc_u32_e32 v7, v9, v7
	s_set_inst_prefetch_distance 0x1
	.p2align	6
.LBB0_13:                               ; =>This Inner Loop Header: Depth=1
	ds_load_b32 v13, v6
	v_add_nc_u32_e32 v8, 32, v8
	v_add_nc_u32_e32 v6, 0x80, v6
	s_waitcnt lgkmcnt(0)
	v_lshrrev_b32_e32 v15, 22, v13
	v_and_b32_e32 v16, 0x3fffff, v13
	s_delay_alu instid0(VALU_DEP_2) | instskip(NEXT) | instid1(VALU_DEP_1)
	v_mul_hi_u32 v2, v15, v7
	v_mul_lo_u32 v2, v2, s4
	s_delay_alu instid0(VALU_DEP_1) | instskip(SKIP_1) | instid1(VALU_DEP_2)
	v_sub_nc_u32_e32 v11, v15, v2
	v_ashrrev_i32_e32 v2, 31, v1
	v_subrev_nc_u32_e32 v12, s4, v11
	v_cmp_le_u32_e32 vcc_lo, s4, v11
	s_delay_alu instid0(VALU_DEP_3) | instskip(NEXT) | instid1(VALU_DEP_3)
	v_lshlrev_b64 v[9:10], 2, v[1:2]
	v_dual_cndmask_b32 v2, v11, v12 :: v_dual_add_nc_u32 v1, 32, v1
	v_cmp_ge_i32_e32 vcc_lo, v8, v5
	s_delay_alu instid0(VALU_DEP_3) | instskip(NEXT) | instid1(VALU_DEP_1)
	v_add_co_u32 v11, s2, s24, v9
	v_add_co_ci_u32_e64 v12, s2, s25, v10, s2
	s_delay_alu instid0(VALU_DEP_4) | instskip(SKIP_2) | instid1(VALU_DEP_1)
	v_subrev_nc_u32_e32 v14, s4, v2
	v_cmp_le_u32_e64 s2, s4, v2
	s_or_b32 s5, vcc_lo, s5
	v_cndmask_b32_e64 v2, v2, v14, s2
	v_add_co_u32 v9, s2, s26, v9
	s_delay_alu instid0(VALU_DEP_1) | instskip(NEXT) | instid1(VALU_DEP_3)
	v_add_co_ci_u32_e64 v10, s2, s27, v10, s2
	v_mad_u64_u32 v[13:14], null, v16, s22, v[2:3]
	v_lshl_add_u32 v2, v16, 1, v15
	global_store_b32 v[9:10], v2, off
	global_store_b32 v[11:12], v13, off
	s_and_not1_b32 exec_lo, exec_lo, s5
	s_cbranch_execnz .LBB0_13
.LBB0_14:
	s_set_inst_prefetch_distance 0x2
	s_or_b32 exec_lo, exec_lo, s3
	s_delay_alu instid0(SALU_CYCLE_1)
	s_mov_b32 s2, exec_lo
	v_cmpx_eq_u32_e32 0, v0
	s_cbranch_execz .LBB0_17
; %bb.15:
	s_load_b32 s0, s[0:1], 0x38
	s_ashr_i32 s19, s18, 31
	s_waitcnt lgkmcnt(0)
	v_dual_mov_b32 v1, 0 :: v_dual_add_nc_u32 v0, v4, v3
	s_lshl_b64 s[2:3], s[18:19], 2
	s_delay_alu instid0(SALU_CYCLE_1) | instskip(SKIP_3) | instid1(SALU_CYCLE_1)
	s_add_u32 s2, s28, s2
	s_addc_u32 s3, s29, s3
	global_store_b32 v1, v0, s[2:3]
	s_add_i32 s1, s0, -1
	s_cmp_lt_i32 s18, s1
	s_cbranch_scc1 .LBB0_17
; %bb.16:
	s_mov_b32 s1, 0
	v_add_nc_u32_e32 v0, v0, v5
	s_lshl_b64 s[0:1], s[0:1], 2
	s_delay_alu instid0(SALU_CYCLE_1)
	s_add_u32 s0, s28, s0
	s_addc_u32 s1, s29, s1
	global_store_b32 v1, v0, s[0:1]
.LBB0_17:
	s_nop 0
	s_sendmsg sendmsg(MSG_DEALLOC_VGPRS)
	s_endpgm
	.section	.rodata,"a",@progbits
	.p2align	6, 0x0
	.amdhsa_kernel _ZL13mm_ids_helperILi2EEvPKiPiS2_S2_iiiii
		.amdhsa_group_segment_fixed_size 0
		.amdhsa_private_segment_fixed_size 0
		.amdhsa_kernarg_size 312
		.amdhsa_user_sgpr_count 15
		.amdhsa_user_sgpr_dispatch_ptr 0
		.amdhsa_user_sgpr_queue_ptr 0
		.amdhsa_user_sgpr_kernarg_segment_ptr 1
		.amdhsa_user_sgpr_dispatch_id 0
		.amdhsa_user_sgpr_private_segment_size 0
		.amdhsa_wavefront_size32 1
		.amdhsa_uses_dynamic_stack 0
		.amdhsa_enable_private_segment 0
		.amdhsa_system_sgpr_workgroup_id_x 1
		.amdhsa_system_sgpr_workgroup_id_y 0
		.amdhsa_system_sgpr_workgroup_id_z 0
		.amdhsa_system_sgpr_workgroup_info 0
		.amdhsa_system_vgpr_workitem_id 0
		.amdhsa_next_free_vgpr 42
		.amdhsa_next_free_sgpr 32
		.amdhsa_reserve_vcc 1
		.amdhsa_float_round_mode_32 0
		.amdhsa_float_round_mode_16_64 0
		.amdhsa_float_denorm_mode_32 3
		.amdhsa_float_denorm_mode_16_64 3
		.amdhsa_dx10_clamp 1
		.amdhsa_ieee_mode 1
		.amdhsa_fp16_overflow 0
		.amdhsa_workgroup_processor_mode 1
		.amdhsa_memory_ordered 1
		.amdhsa_forward_progress 0
		.amdhsa_shared_vgpr_count 0
		.amdhsa_exception_fp_ieee_invalid_op 0
		.amdhsa_exception_fp_denorm_src 0
		.amdhsa_exception_fp_ieee_div_zero 0
		.amdhsa_exception_fp_ieee_overflow 0
		.amdhsa_exception_fp_ieee_underflow 0
		.amdhsa_exception_fp_ieee_inexact 0
		.amdhsa_exception_int_div_zero 0
	.end_amdhsa_kernel
	.section	.text._ZL13mm_ids_helperILi2EEvPKiPiS2_S2_iiiii,"axG",@progbits,_ZL13mm_ids_helperILi2EEvPKiPiS2_S2_iiiii,comdat
.Lfunc_end0:
	.size	_ZL13mm_ids_helperILi2EEvPKiPiS2_S2_iiiii, .Lfunc_end0-_ZL13mm_ids_helperILi2EEvPKiPiS2_S2_iiiii
                                        ; -- End function
	.section	.AMDGPU.csdata,"",@progbits
; Kernel info:
; codeLenInByte = 1980
; NumSgprs: 34
; NumVgprs: 42
; ScratchSize: 0
; MemoryBound: 0
; FloatMode: 240
; IeeeMode: 1
; LDSByteSize: 0 bytes/workgroup (compile time only)
; SGPRBlocks: 4
; VGPRBlocks: 5
; NumSGPRsForWavesPerEU: 34
; NumVGPRsForWavesPerEU: 42
; Occupancy: 16
; WaveLimiterHint : 0
; COMPUTE_PGM_RSRC2:SCRATCH_EN: 0
; COMPUTE_PGM_RSRC2:USER_SGPR: 15
; COMPUTE_PGM_RSRC2:TRAP_HANDLER: 0
; COMPUTE_PGM_RSRC2:TGID_X_EN: 1
; COMPUTE_PGM_RSRC2:TGID_Y_EN: 0
; COMPUTE_PGM_RSRC2:TGID_Z_EN: 0
; COMPUTE_PGM_RSRC2:TIDIG_COMP_CNT: 0
	.section	.text._ZL13mm_ids_helperILi4EEvPKiPiS2_S2_iiiii,"axG",@progbits,_ZL13mm_ids_helperILi4EEvPKiPiS2_S2_iiiii,comdat
	.globl	_ZL13mm_ids_helperILi4EEvPKiPiS2_S2_iiiii ; -- Begin function _ZL13mm_ids_helperILi4EEvPKiPiS2_S2_iiiii
	.p2align	8
	.type	_ZL13mm_ids_helperILi4EEvPKiPiS2_S2_iiiii,@function
_ZL13mm_ids_helperILi4EEvPKiPiS2_S2_iiiii: ; @_ZL13mm_ids_helperILi4EEvPKiPiS2_S2_iiiii
; %bb.0:
	s_mov_b32 s10, s15
	s_clause 0x1
	s_load_b32 s11, s[0:1], 0x20
	s_load_b128 s[12:15], s[0:1], 0x28
	v_mbcnt_lo_u32_b32 v6, -1, 0
	s_mov_b32 s2, 0
	s_waitcnt lgkmcnt(0)
	s_cmp_gt_i32 s11, 0
	s_cbranch_scc1 .LBB1_2
; %bb.1:
	v_mbcnt_lo_u32_b32 v1, -1, 0
	v_mov_b32_e32 v7, 0
	s_mov_b32 s3, 0
	s_delay_alu instid0(VALU_DEP_2)
	v_xor_b32_e32 v4, 2, v1
	v_xor_b32_e32 v5, 1, v1
	s_branch .LBB1_3
.LBB1_2:
	s_mov_b32 s2, -1
                                        ; implicit-def: $sgpr3
                                        ; implicit-def: $vgpr1
                                        ; implicit-def: $vgpr7
                                        ; implicit-def: $vgpr4
                                        ; implicit-def: $vgpr5
.LBB1_3:
	s_clause 0x1
	s_load_b128 s[16:19], s[0:1], 0x8
	s_load_b64 s[20:21], s[0:1], 0x18
	v_dual_mov_b32 v8, s3 :: v_dual_mov_b32 v3, s3
	s_and_not1_b32 vcc_lo, exec_lo, s2
	s_cbranch_vccnz .LBB1_11
; %bb.4:
	v_xor_b32_e32 v4, 2, v6
	v_and_b32_e32 v1, 28, v6
	v_xor_b32_e32 v5, 1, v6
	v_dual_mov_b32 v7, 0 :: v_dual_add_nc_u32 v2, -4, v6
	s_load_b64 s[22:23], s[0:1], 0x0
	s_delay_alu instid0(VALU_DEP_3)
	v_add_nc_u32_e32 v1, 4, v1
	v_lshrrev_b32_e32 v9, 2, v0
	v_cmp_gt_u32_e64 s3, 12, v0
	v_cmp_gt_u32_e64 s4, 16, v0
	;; [unrolled: 1-line block ×3, first 2 shown]
	v_cmp_lt_i32_e32 vcc_lo, v4, v1
	v_cmp_gt_u32_e64 s7, 28, v0
	s_mov_b32 s15, 0
	v_dual_mov_b32 v13, 0x7c :: v_dual_cndmask_b32 v8, v6, v4
	v_cmp_lt_i32_e32 vcc_lo, v5, v1
	s_delay_alu instid0(VALU_DEP_2) | instskip(SKIP_3) | instid1(VALU_DEP_3)
	v_lshlrev_b32_e32 v11, 2, v8
	v_dual_cndmask_b32 v1, v6, v5 :: v_dual_add_nc_u32 v8, -8, v6
	v_cmp_gt_i32_e32 vcc_lo, 0, v2
	v_and_b32_e32 v3, 3, v0
	v_lshlrev_b32_e32 v12, 2, v1
	v_add_nc_u32_e32 v1, -12, v6
	v_cndmask_b32_e32 v2, v2, v6, vcc_lo
	v_cmp_gt_i32_e32 vcc_lo, 0, v8
	v_lshlrev_b32_e32 v10, 22, v3
	s_delay_alu instid0(VALU_DEP_4) | instskip(NEXT) | instid1(VALU_DEP_4)
	v_cmp_gt_i32_e64 s2, 0, v1
	v_lshlrev_b32_e32 v14, 2, v2
	v_cndmask_b32_e32 v2, v8, v6, vcc_lo
	v_add_nc_u32_e32 v8, -16, v6
	v_cmp_gt_u32_e32 vcc_lo, 4, v0
	v_cndmask_b32_e64 v1, v1, v6, s2
	s_delay_alu instid0(VALU_DEP_4) | instskip(NEXT) | instid1(VALU_DEP_4)
	v_lshlrev_b32_e32 v15, 2, v2
	v_cmp_gt_i32_e64 s2, 0, v8
	s_delay_alu instid0(VALU_DEP_3) | instskip(SKIP_1) | instid1(VALU_DEP_3)
	v_lshlrev_b32_e32 v16, 2, v1
	v_subrev_nc_u32_e32 v1, 20, v6
	v_cndmask_b32_e64 v2, v8, v6, s2
	v_subrev_nc_u32_e32 v8, 28, v6
	v_cmp_gt_u32_e64 s2, 8, v0
	s_delay_alu instid0(VALU_DEP_4) | instskip(NEXT) | instid1(VALU_DEP_4)
	v_cmp_gt_i32_e64 s5, 0, v1
	v_lshlrev_b32_e32 v17, 2, v2
	v_subrev_nc_u32_e32 v2, 24, v6
	s_delay_alu instid0(VALU_DEP_3) | instskip(NEXT) | instid1(VALU_DEP_2)
	v_cndmask_b32_e64 v1, v1, v6, s5
	v_cmp_gt_i32_e64 s5, 0, v2
	s_delay_alu instid0(VALU_DEP_2) | instskip(NEXT) | instid1(VALU_DEP_2)
	v_lshlrev_b32_e32 v18, 2, v1
	v_cndmask_b32_e64 v2, v2, v6, s5
	v_cmp_gt_i32_e64 s5, 0, v8
	s_delay_alu instid0(VALU_DEP_2) | instskip(NEXT) | instid1(VALU_DEP_2)
	v_lshlrev_b32_e32 v19, 2, v2
	v_cndmask_b32_e64 v8, v8, v6, s5
	v_mad_u64_u32 v[1:2], null, s13, v9, v[3:4]
	v_cmp_gt_u32_e64 s5, 20, v0
	s_delay_alu instid0(VALU_DEP_3)
	v_dual_mov_b32 v3, 0 :: v_dual_lshlrev_b32 v20, 2, v8
	v_mov_b32_e32 v8, 0
	s_lshl_b32 s13, s13, 3
	s_branch .LBB1_6
.LBB1_5:                                ;   in Loop: Header=BB1_6 Depth=1
	s_or_b32 exec_lo, exec_lo, s9
	s_delay_alu instid0(VALU_DEP_1) | instskip(SKIP_3) | instid1(SALU_CYCLE_1)
	v_add_nc_u32_e32 v21, v23, v22
	v_cmp_gt_i32_e64 s8, s10, v2
	v_add_nc_u32_e32 v1, s13, v1
	s_add_i32 s15, s15, 8
	s_cmp_ge_i32 s15, s11
	ds_bpermute_b32 v21, v13, v21
	v_add_co_ci_u32_e64 v8, s8, 0, v8, s8
	s_waitcnt lgkmcnt(0)
	v_add_nc_u32_e32 v3, v21, v3
	s_cbranch_scc1 .LBB1_10
.LBB1_6:                                ; =>This Inner Loop Header: Depth=1
	v_add_nc_u32_e32 v21, s15, v9
	v_bfrev_b32_e32 v2, -2
	s_mov_b32 s9, exec_lo
	s_delay_alu instid0(VALU_DEP_2)
	v_cmpx_gt_i32_e64 s11, v21
	s_cbranch_execz .LBB1_8
; %bb.7:                                ;   in Loop: Header=BB1_6 Depth=1
	v_ashrrev_i32_e32 v2, 31, v1
	s_delay_alu instid0(VALU_DEP_1) | instskip(SKIP_1) | instid1(VALU_DEP_1)
	v_lshlrev_b64 v[22:23], 2, v[1:2]
	s_waitcnt lgkmcnt(0)
	v_add_co_u32 v22, s8, s22, v22
	s_delay_alu instid0(VALU_DEP_1)
	v_add_co_ci_u32_e64 v23, s8, s23, v23, s8
	global_load_b32 v2, v[22:23], off
.LBB1_8:                                ;   in Loop: Header=BB1_6 Depth=1
	s_or_b32 exec_lo, exec_lo, s9
	s_waitcnt vmcnt(0)
	v_cmp_eq_u32_e64 s8, s10, v2
	s_delay_alu instid0(VALU_DEP_1) | instskip(SKIP_3) | instid1(VALU_DEP_1)
	v_cndmask_b32_e64 v22, 0, 1, s8
	ds_bpermute_b32 v23, v11, v22
	s_waitcnt lgkmcnt(0)
	v_or_b32_e32 v22, v23, v22
	v_cmp_ne_u32_e64 s9, 0, v22
	s_delay_alu instid0(VALU_DEP_1) | instskip(SKIP_3) | instid1(VALU_DEP_1)
	v_cndmask_b32_e64 v23, 0, 1, s9
	ds_bpermute_b32 v23, v12, v23
	s_waitcnt lgkmcnt(0)
	v_or_b32_e32 v22, v23, v22
	v_cmp_ne_u32_e64 s9, 0, v22
	s_delay_alu instid0(VALU_DEP_1)
	v_cndmask_b32_e64 v22, 0, 1, s9
	ds_bpermute_b32 v23, v14, v22
	ds_bpermute_b32 v24, v15, v22
	;; [unrolled: 1-line block ×7, first 2 shown]
	s_waitcnt lgkmcnt(6)
	v_cndmask_b32_e64 v23, v23, 0, vcc_lo
	s_waitcnt lgkmcnt(5)
	v_cndmask_b32_e64 v24, v24, 0, s2
	s_waitcnt lgkmcnt(4)
	v_cndmask_b32_e64 v25, v25, 0, s3
	s_waitcnt lgkmcnt(3)
	v_cndmask_b32_e64 v26, v26, 0, s4
	s_waitcnt lgkmcnt(2)
	v_cndmask_b32_e64 v27, v27, 0, s5
	v_add3_u32 v23, v24, v23, v25
	s_waitcnt lgkmcnt(1)
	v_cndmask_b32_e64 v24, v28, 0, s6
	s_waitcnt lgkmcnt(0)
	v_cndmask_b32_e64 v25, v29, 0, s7
	v_add3_u32 v23, v26, v23, v27
	s_delay_alu instid0(VALU_DEP_1)
	v_add3_u32 v23, v24, v23, v25
	s_and_saveexec_b32 s9, s8
	s_cbranch_execz .LBB1_5
; %bb.9:                                ;   in Loop: Header=BB1_6 Depth=1
	v_lshlrev_b32_e32 v24, 2, v3
	s_delay_alu instid0(VALU_DEP_2) | instskip(SKIP_1) | instid1(VALU_DEP_2)
	v_lshlrev_b32_e32 v25, 2, v23
	v_and_or_b32 v21, 0x3fffff, v21, v10
	v_add3_u32 v24, 0, v24, v25
	ds_store_b32 v24, v21
	s_branch .LBB1_5
.LBB1_10:
	v_mov_b32_e32 v1, v6
.LBB1_11:
	s_delay_alu instid0(VALU_DEP_1) | instskip(SKIP_4) | instid1(VALU_DEP_2)
	v_xor_b32_e32 v2, 16, v1
	v_xor_b32_e32 v9, 4, v1
	v_add_nc_u32_e32 v10, 32, v7
	v_xor_b32_e32 v6, 8, v1
	s_mov_b32 s3, exec_lo
	v_cmp_lt_i32_e32 vcc_lo, v2, v10
	v_cndmask_b32_e32 v2, v1, v2, vcc_lo
	s_delay_alu instid0(VALU_DEP_3) | instskip(SKIP_4) | instid1(VALU_DEP_2)
	v_cmp_lt_i32_e32 vcc_lo, v6, v10
	v_cndmask_b32_e32 v6, v1, v6, vcc_lo
	v_cmp_lt_i32_e32 vcc_lo, v9, v10
	v_cndmask_b32_e32 v9, v1, v9, vcc_lo
	v_cmp_lt_i32_e32 vcc_lo, v4, v10
	v_dual_cndmask_b32 v4, v1, v4 :: v_dual_lshlrev_b32 v9, 2, v9
	v_cmp_lt_i32_e32 vcc_lo, v5, v10
	v_dual_cndmask_b32 v1, v1, v5 :: v_dual_lshlrev_b32 v2, 2, v2
	ds_bpermute_b32 v2, v2, v8
	v_lshlrev_b32_e32 v1, 2, v1
	s_waitcnt lgkmcnt(0)
	v_add_nc_u32_e32 v7, v2, v8
	v_lshlrev_b32_e32 v6, 2, v6
	ds_bpermute_b32 v6, v6, v7
	s_waitcnt lgkmcnt(0)
	v_add_nc_u32_e32 v11, v6, v7
	ds_bpermute_b32 v7, v9, v11
	s_waitcnt lgkmcnt(0)
	v_add_nc_u32_e32 v11, v7, v11
	v_lshlrev_b32_e32 v4, 2, v4
	ds_bpermute_b32 v9, v4, v11
	s_waitcnt lgkmcnt(0)
	v_add_nc_u32_e32 v4, v9, v11
	ds_bpermute_b32 v5, v1, v4
	v_cmpx_lt_i32_e64 v0, v3
	s_cbranch_execz .LBB1_14
; %bb.12:
	s_abs_i32 s4, s12
	v_add3_u32 v2, v2, v6, v7
	v_cvt_f32_u32_e32 v1, s4
	s_sub_i32 s2, 0, s4
	v_lshl_add_u32 v6, v0, 2, 0
	s_mov_b32 s5, 0
	s_delay_alu instid0(VALU_DEP_2) | instskip(SKIP_2) | instid1(VALU_DEP_1)
	v_rcp_iflag_f32_e32 v1, v1
	s_waitcnt_depctr 0xfff
	v_mul_f32_e32 v1, 0x4f7ffffe, v1
	v_cvt_u32_f32_e32 v10, v1
	s_delay_alu instid0(VALU_DEP_1) | instskip(NEXT) | instid1(VALU_DEP_1)
	v_mul_lo_u32 v1, s2, v10
	v_mul_hi_u32 v7, v10, v1
	s_waitcnt lgkmcnt(0)
	v_add3_u32 v1, v2, v9, v5
	s_delay_alu instid0(VALU_DEP_1) | instskip(NEXT) | instid1(VALU_DEP_3)
	v_add3_u32 v1, v1, v0, v8
	v_dual_mov_b32 v8, v0 :: v_dual_add_nc_u32 v7, v10, v7
	s_set_inst_prefetch_distance 0x1
	.p2align	6
.LBB1_13:                               ; =>This Inner Loop Header: Depth=1
	ds_load_b32 v13, v6
	v_add_nc_u32_e32 v8, 32, v8
	v_add_nc_u32_e32 v6, 0x80, v6
	s_waitcnt lgkmcnt(0)
	v_lshrrev_b32_e32 v15, 22, v13
	v_and_b32_e32 v16, 0x3fffff, v13
	s_delay_alu instid0(VALU_DEP_2) | instskip(NEXT) | instid1(VALU_DEP_1)
	v_mul_hi_u32 v2, v15, v7
	v_mul_lo_u32 v2, v2, s4
	s_delay_alu instid0(VALU_DEP_1) | instskip(SKIP_1) | instid1(VALU_DEP_2)
	v_sub_nc_u32_e32 v11, v15, v2
	v_ashrrev_i32_e32 v2, 31, v1
	v_subrev_nc_u32_e32 v12, s4, v11
	v_cmp_le_u32_e32 vcc_lo, s4, v11
	s_delay_alu instid0(VALU_DEP_3) | instskip(NEXT) | instid1(VALU_DEP_3)
	v_lshlrev_b64 v[9:10], 2, v[1:2]
	v_dual_cndmask_b32 v2, v11, v12 :: v_dual_add_nc_u32 v1, 32, v1
	v_cmp_ge_i32_e32 vcc_lo, v8, v3
	s_delay_alu instid0(VALU_DEP_3) | instskip(NEXT) | instid1(VALU_DEP_1)
	v_add_co_u32 v11, s2, s16, v9
	v_add_co_ci_u32_e64 v12, s2, s17, v10, s2
	s_delay_alu instid0(VALU_DEP_4) | instskip(SKIP_2) | instid1(VALU_DEP_1)
	v_subrev_nc_u32_e32 v14, s4, v2
	v_cmp_le_u32_e64 s2, s4, v2
	s_or_b32 s5, vcc_lo, s5
	v_cndmask_b32_e64 v2, v2, v14, s2
	v_add_co_u32 v9, s2, s18, v9
	s_delay_alu instid0(VALU_DEP_1) | instskip(NEXT) | instid1(VALU_DEP_3)
	v_add_co_ci_u32_e64 v10, s2, s19, v10, s2
	v_mad_u64_u32 v[13:14], null, v16, s14, v[2:3]
	v_lshl_add_u32 v2, v16, 2, v15
	global_store_b32 v[9:10], v2, off
	global_store_b32 v[11:12], v13, off
	s_and_not1_b32 exec_lo, exec_lo, s5
	s_cbranch_execnz .LBB1_13
.LBB1_14:
	s_set_inst_prefetch_distance 0x2
	s_or_b32 exec_lo, exec_lo, s3
	s_delay_alu instid0(SALU_CYCLE_1)
	s_mov_b32 s2, exec_lo
	v_cmpx_eq_u32_e32 0, v0
	s_cbranch_execz .LBB1_17
; %bb.15:
	s_load_b32 s0, s[0:1], 0x38
	s_ashr_i32 s11, s10, 31
	s_waitcnt lgkmcnt(0)
	v_dual_mov_b32 v1, 0 :: v_dual_add_nc_u32 v0, v5, v4
	s_lshl_b64 s[2:3], s[10:11], 2
	s_delay_alu instid0(SALU_CYCLE_1) | instskip(SKIP_3) | instid1(SALU_CYCLE_1)
	s_add_u32 s2, s20, s2
	s_addc_u32 s3, s21, s3
	global_store_b32 v1, v0, s[2:3]
	s_add_i32 s1, s0, -1
	s_cmp_lt_i32 s10, s1
	s_cbranch_scc1 .LBB1_17
; %bb.16:
	s_mov_b32 s1, 0
	v_add_nc_u32_e32 v0, v0, v3
	s_lshl_b64 s[0:1], s[0:1], 2
	s_delay_alu instid0(SALU_CYCLE_1)
	s_add_u32 s0, s20, s0
	s_addc_u32 s1, s21, s1
	global_store_b32 v1, v0, s[0:1]
.LBB1_17:
	s_nop 0
	s_sendmsg sendmsg(MSG_DEALLOC_VGPRS)
	s_endpgm
	.section	.rodata,"a",@progbits
	.p2align	6, 0x0
	.amdhsa_kernel _ZL13mm_ids_helperILi4EEvPKiPiS2_S2_iiiii
		.amdhsa_group_segment_fixed_size 0
		.amdhsa_private_segment_fixed_size 0
		.amdhsa_kernarg_size 312
		.amdhsa_user_sgpr_count 15
		.amdhsa_user_sgpr_dispatch_ptr 0
		.amdhsa_user_sgpr_queue_ptr 0
		.amdhsa_user_sgpr_kernarg_segment_ptr 1
		.amdhsa_user_sgpr_dispatch_id 0
		.amdhsa_user_sgpr_private_segment_size 0
		.amdhsa_wavefront_size32 1
		.amdhsa_uses_dynamic_stack 0
		.amdhsa_enable_private_segment 0
		.amdhsa_system_sgpr_workgroup_id_x 1
		.amdhsa_system_sgpr_workgroup_id_y 0
		.amdhsa_system_sgpr_workgroup_id_z 0
		.amdhsa_system_sgpr_workgroup_info 0
		.amdhsa_system_vgpr_workitem_id 0
		.amdhsa_next_free_vgpr 30
		.amdhsa_next_free_sgpr 24
		.amdhsa_reserve_vcc 1
		.amdhsa_float_round_mode_32 0
		.amdhsa_float_round_mode_16_64 0
		.amdhsa_float_denorm_mode_32 3
		.amdhsa_float_denorm_mode_16_64 3
		.amdhsa_dx10_clamp 1
		.amdhsa_ieee_mode 1
		.amdhsa_fp16_overflow 0
		.amdhsa_workgroup_processor_mode 1
		.amdhsa_memory_ordered 1
		.amdhsa_forward_progress 0
		.amdhsa_shared_vgpr_count 0
		.amdhsa_exception_fp_ieee_invalid_op 0
		.amdhsa_exception_fp_denorm_src 0
		.amdhsa_exception_fp_ieee_div_zero 0
		.amdhsa_exception_fp_ieee_overflow 0
		.amdhsa_exception_fp_ieee_underflow 0
		.amdhsa_exception_fp_ieee_inexact 0
		.amdhsa_exception_int_div_zero 0
	.end_amdhsa_kernel
	.section	.text._ZL13mm_ids_helperILi4EEvPKiPiS2_S2_iiiii,"axG",@progbits,_ZL13mm_ids_helperILi4EEvPKiPiS2_S2_iiiii,comdat
.Lfunc_end1:
	.size	_ZL13mm_ids_helperILi4EEvPKiPiS2_S2_iiiii, .Lfunc_end1-_ZL13mm_ids_helperILi4EEvPKiPiS2_S2_iiiii
                                        ; -- End function
	.section	.AMDGPU.csdata,"",@progbits
; Kernel info:
; codeLenInByte = 1544
; NumSgprs: 26
; NumVgprs: 30
; ScratchSize: 0
; MemoryBound: 0
; FloatMode: 240
; IeeeMode: 1
; LDSByteSize: 0 bytes/workgroup (compile time only)
; SGPRBlocks: 3
; VGPRBlocks: 3
; NumSGPRsForWavesPerEU: 26
; NumVGPRsForWavesPerEU: 30
; Occupancy: 16
; WaveLimiterHint : 0
; COMPUTE_PGM_RSRC2:SCRATCH_EN: 0
; COMPUTE_PGM_RSRC2:USER_SGPR: 15
; COMPUTE_PGM_RSRC2:TRAP_HANDLER: 0
; COMPUTE_PGM_RSRC2:TGID_X_EN: 1
; COMPUTE_PGM_RSRC2:TGID_Y_EN: 0
; COMPUTE_PGM_RSRC2:TGID_Z_EN: 0
; COMPUTE_PGM_RSRC2:TIDIG_COMP_CNT: 0
	.section	.text._ZL13mm_ids_helperILi6EEvPKiPiS2_S2_iiiii,"axG",@progbits,_ZL13mm_ids_helperILi6EEvPKiPiS2_S2_iiiii,comdat
	.globl	_ZL13mm_ids_helperILi6EEvPKiPiS2_S2_iiiii ; -- Begin function _ZL13mm_ids_helperILi6EEvPKiPiS2_S2_iiiii
	.p2align	8
	.type	_ZL13mm_ids_helperILi6EEvPKiPiS2_S2_iiiii,@function
_ZL13mm_ids_helperILi6EEvPKiPiS2_S2_iiiii: ; @_ZL13mm_ids_helperILi6EEvPKiPiS2_S2_iiiii
; %bb.0:
	s_clause 0x1
	s_load_b32 s7, s[0:1], 0x20
	s_load_b128 s[8:11], s[0:1], 0x28
	v_mbcnt_lo_u32_b32 v7, -1, 0
	s_mov_b32 s16, s15
	s_mov_b32 s2, 0
	s_waitcnt lgkmcnt(0)
	s_cmp_gt_i32 s7, 0
	s_cbranch_scc1 .LBB2_2
; %bb.1:
	v_mbcnt_lo_u32_b32 v1, -1, 0
	v_mov_b32_e32 v8, 0
	s_mov_b32 s3, 0
	s_delay_alu instid0(VALU_DEP_2)
	v_xor_b32_e32 v4, 4, v1
	v_xor_b32_e32 v5, 2, v1
	;; [unrolled: 1-line block ×3, first 2 shown]
	s_branch .LBB2_3
.LBB2_2:
	s_mov_b32 s2, -1
                                        ; implicit-def: $sgpr3
                                        ; implicit-def: $vgpr1
                                        ; implicit-def: $vgpr8
                                        ; implicit-def: $vgpr4
                                        ; implicit-def: $vgpr5
                                        ; implicit-def: $vgpr6
.LBB2_3:
	s_clause 0x1
	s_load_b128 s[12:15], s[0:1], 0x8
	s_load_b64 s[18:19], s[0:1], 0x18
	v_mov_b32_e32 v9, s3
	v_mov_b32_e32 v3, s3
	s_and_not1_b32 vcc_lo, exec_lo, s2
	s_cbranch_vccnz .LBB2_11
; %bb.4:
	v_dual_mov_b32 v8, 0 :: v_dual_and_b32 v1, 24, v7
	v_xor_b32_e32 v4, 4, v7
	v_xor_b32_e32 v5, 2, v7
	v_xor_b32_e32 v6, 1, v7
	s_delay_alu instid0(VALU_DEP_4)
	v_add_nc_u32_e32 v1, 8, v1
	s_load_b64 s[20:21], s[0:1], 0x0
	v_lshrrev_b32_e32 v10, 3, v0
	v_and_b32_e32 v3, 7, v0
	v_cmp_gt_u32_e64 s3, 16, v0
	v_cmp_lt_i32_e64 s2, v4, v1
	v_cmp_gt_u32_e64 s4, 24, v0
	s_mov_b32 s11, 0
	v_cmp_gt_u32_e32 vcc_lo, 6, v3
	v_lshlrev_b32_e32 v11, 22, v3
	v_cndmask_b32_e64 v2, v7, v4, s2
	v_cmp_lt_i32_e64 s2, v5, v1
	s_delay_alu instid0(VALU_DEP_2) | instskip(NEXT) | instid1(VALU_DEP_2)
	v_dual_mov_b32 v15, 0x7c :: v_dual_lshlrev_b32 v12, 2, v2
	v_cndmask_b32_e64 v9, v7, v5, s2
	v_cmp_lt_i32_e64 s2, v6, v1
	v_add_nc_u32_e32 v2, -8, v7
	s_delay_alu instid0(VALU_DEP_3) | instskip(NEXT) | instid1(VALU_DEP_3)
	v_lshlrev_b32_e32 v13, 2, v9
	v_cndmask_b32_e64 v1, v7, v6, s2
	s_delay_alu instid0(VALU_DEP_3) | instskip(SKIP_1) | instid1(VALU_DEP_3)
	v_cmp_gt_i32_e64 s2, 0, v2
	v_subrev_nc_u32_e32 v9, 24, v7
	v_lshlrev_b32_e32 v14, 2, v1
	v_add_nc_u32_e32 v1, -16, v7
	s_delay_alu instid0(VALU_DEP_4) | instskip(NEXT) | instid1(VALU_DEP_2)
	v_cndmask_b32_e64 v2, v2, v7, s2
	v_cmp_gt_i32_e64 s2, 0, v1
	s_delay_alu instid0(VALU_DEP_2) | instskip(NEXT) | instid1(VALU_DEP_2)
	v_lshlrev_b32_e32 v16, 2, v2
	v_cndmask_b32_e64 v1, v1, v7, s2
	v_cmp_gt_i32_e64 s2, 0, v9
	s_delay_alu instid0(VALU_DEP_2) | instskip(NEXT) | instid1(VALU_DEP_2)
	v_lshlrev_b32_e32 v17, 2, v1
	v_cndmask_b32_e64 v9, v9, v7, s2
	v_mad_u64_u32 v[1:2], null, s9, v10, v[3:4]
	v_mov_b32_e32 v3, 0
	v_cmp_gt_u32_e64 s2, 8, v0
	s_delay_alu instid0(VALU_DEP_4)
	v_dual_mov_b32 v9, 0 :: v_dual_lshlrev_b32 v18, 2, v9
	s_lshl_b32 s9, s9, 2
	s_branch .LBB2_6
.LBB2_5:                                ;   in Loop: Header=BB2_6 Depth=1
	s_or_b32 exec_lo, exec_lo, s6
	s_delay_alu instid0(VALU_DEP_1) | instskip(SKIP_3) | instid1(SALU_CYCLE_1)
	v_add_nc_u32_e32 v19, v21, v20
	v_cmp_gt_i32_e64 s5, s16, v2
	v_add_nc_u32_e32 v1, s9, v1
	s_add_i32 s11, s11, 4
	s_cmp_ge_i32 s11, s7
	ds_bpermute_b32 v19, v15, v19
	v_add_co_ci_u32_e64 v9, s5, 0, v9, s5
	s_waitcnt lgkmcnt(0)
	v_add_nc_u32_e32 v3, v19, v3
	s_cbranch_scc1 .LBB2_10
.LBB2_6:                                ; =>This Inner Loop Header: Depth=1
	v_add_nc_u32_e32 v19, s11, v10
	v_bfrev_b32_e32 v2, -2
	s_delay_alu instid0(VALU_DEP_2) | instskip(NEXT) | instid1(VALU_DEP_1)
	v_cmp_gt_i32_e64 s5, s7, v19
	s_and_b32 s5, vcc_lo, s5
	s_delay_alu instid0(SALU_CYCLE_1)
	s_and_saveexec_b32 s6, s5
	s_cbranch_execz .LBB2_8
; %bb.7:                                ;   in Loop: Header=BB2_6 Depth=1
	v_ashrrev_i32_e32 v2, 31, v1
	s_delay_alu instid0(VALU_DEP_1) | instskip(SKIP_1) | instid1(VALU_DEP_1)
	v_lshlrev_b64 v[20:21], 2, v[1:2]
	s_waitcnt lgkmcnt(0)
	v_add_co_u32 v20, s5, s20, v20
	s_delay_alu instid0(VALU_DEP_1)
	v_add_co_ci_u32_e64 v21, s5, s21, v21, s5
	global_load_b32 v2, v[20:21], off
.LBB2_8:                                ;   in Loop: Header=BB2_6 Depth=1
	s_or_b32 exec_lo, exec_lo, s6
	s_waitcnt vmcnt(0)
	v_cmp_eq_u32_e64 s5, s16, v2
	s_delay_alu instid0(VALU_DEP_1) | instskip(SKIP_3) | instid1(VALU_DEP_1)
	v_cndmask_b32_e64 v20, 0, 1, s5
	ds_bpermute_b32 v21, v12, v20
	s_waitcnt lgkmcnt(0)
	v_or_b32_e32 v20, v21, v20
	v_cmp_ne_u32_e64 s6, 0, v20
	s_delay_alu instid0(VALU_DEP_1) | instskip(SKIP_3) | instid1(VALU_DEP_1)
	v_cndmask_b32_e64 v21, 0, 1, s6
	ds_bpermute_b32 v21, v13, v21
	s_waitcnt lgkmcnt(0)
	v_or_b32_e32 v20, v21, v20
	v_cmp_ne_u32_e64 s6, 0, v20
	;; [unrolled: 6-line block ×3, first 2 shown]
	s_delay_alu instid0(VALU_DEP_1)
	v_cndmask_b32_e64 v20, 0, 1, s6
	ds_bpermute_b32 v21, v16, v20
	ds_bpermute_b32 v22, v17, v20
	;; [unrolled: 1-line block ×3, first 2 shown]
	s_waitcnt lgkmcnt(2)
	v_cndmask_b32_e64 v21, v21, 0, s2
	s_waitcnt lgkmcnt(1)
	v_cndmask_b32_e64 v22, v22, 0, s3
	;; [unrolled: 2-line block ×3, first 2 shown]
	s_delay_alu instid0(VALU_DEP_1)
	v_add3_u32 v21, v22, v21, v23
	s_and_saveexec_b32 s6, s5
	s_cbranch_execz .LBB2_5
; %bb.9:                                ;   in Loop: Header=BB2_6 Depth=1
	v_lshlrev_b32_e32 v22, 2, v3
	s_delay_alu instid0(VALU_DEP_2) | instskip(SKIP_1) | instid1(VALU_DEP_2)
	v_lshlrev_b32_e32 v23, 2, v21
	v_and_or_b32 v19, 0x3fffff, v19, v11
	v_add3_u32 v22, 0, v22, v23
	ds_store_b32 v22, v19
	s_branch .LBB2_5
.LBB2_10:
	v_mov_b32_e32 v1, v7
.LBB2_11:
	s_delay_alu instid0(VALU_DEP_1) | instskip(SKIP_3) | instid1(VALU_DEP_2)
	v_xor_b32_e32 v2, 16, v1
	v_add_nc_u32_e32 v11, 32, v8
	v_xor_b32_e32 v7, 8, v1
	s_mov_b32 s3, exec_lo
	v_cmp_lt_i32_e32 vcc_lo, v2, v11
	v_cndmask_b32_e32 v2, v1, v2, vcc_lo
	s_delay_alu instid0(VALU_DEP_3) | instskip(NEXT) | instid1(VALU_DEP_2)
	v_cmp_lt_i32_e32 vcc_lo, v7, v11
	v_dual_cndmask_b32 v7, v1, v7 :: v_dual_lshlrev_b32 v2, 2, v2
	v_cmp_lt_i32_e32 vcc_lo, v4, v11
	ds_bpermute_b32 v2, v2, v9
	v_dual_cndmask_b32 v4, v1, v4 :: v_dual_lshlrev_b32 v7, 2, v7
	v_cmp_lt_i32_e32 vcc_lo, v5, v11
	s_delay_alu instid0(VALU_DEP_2)
	v_lshlrev_b32_e32 v4, 2, v4
	s_waitcnt lgkmcnt(0)
	v_add_nc_u32_e32 v8, v2, v9
	ds_bpermute_b32 v7, v7, v8
	s_waitcnt lgkmcnt(0)
	v_add_nc_u32_e32 v10, v7, v8
	ds_bpermute_b32 v8, v4, v10
	v_cndmask_b32_e32 v4, v1, v5, vcc_lo
	v_cmp_lt_i32_e32 vcc_lo, v6, v11
	v_cndmask_b32_e32 v1, v1, v6, vcc_lo
	s_delay_alu instid0(VALU_DEP_1)
	v_lshlrev_b32_e32 v1, 2, v1
	s_waitcnt lgkmcnt(0)
	v_add_nc_u32_e32 v5, v8, v10
	v_lshlrev_b32_e32 v4, 2, v4
	ds_bpermute_b32 v10, v4, v5
	s_waitcnt lgkmcnt(0)
	v_add_nc_u32_e32 v4, v10, v5
	ds_bpermute_b32 v5, v1, v4
	v_cmpx_lt_i32_e64 v0, v3
	s_cbranch_execz .LBB2_14
; %bb.12:
	s_abs_i32 s4, s8
	v_add3_u32 v2, v2, v7, v8
	v_cvt_f32_u32_e32 v1, s4
	s_sub_i32 s2, 0, s4
	v_lshl_add_u32 v6, v0, 2, 0
	s_mov_b32 s5, 0
	v_mov_b32_e32 v8, v0
	v_rcp_iflag_f32_e32 v1, v1
	s_waitcnt_depctr 0xfff
	v_mul_f32_e32 v1, 0x4f7ffffe, v1
	s_delay_alu instid0(VALU_DEP_1) | instskip(NEXT) | instid1(VALU_DEP_1)
	v_cvt_u32_f32_e32 v11, v1
	v_mul_lo_u32 v1, s2, v11
	s_delay_alu instid0(VALU_DEP_1) | instskip(SKIP_2) | instid1(VALU_DEP_1)
	v_mul_hi_u32 v7, v11, v1
	s_waitcnt lgkmcnt(0)
	v_add3_u32 v1, v2, v10, v5
	v_add3_u32 v1, v1, v0, v9
	s_delay_alu instid0(VALU_DEP_3)
	v_add_nc_u32_e32 v7, v11, v7
	s_set_inst_prefetch_distance 0x1
	.p2align	6
.LBB2_13:                               ; =>This Inner Loop Header: Depth=1
	ds_load_b32 v13, v6
	v_add_nc_u32_e32 v8, 32, v8
	v_add_nc_u32_e32 v6, 0x80, v6
	s_waitcnt lgkmcnt(0)
	v_lshrrev_b32_e32 v15, 22, v13
	v_and_b32_e32 v16, 0x3fffff, v13
	s_delay_alu instid0(VALU_DEP_2) | instskip(NEXT) | instid1(VALU_DEP_1)
	v_mul_hi_u32 v2, v15, v7
	v_mul_lo_u32 v2, v2, s4
	s_delay_alu instid0(VALU_DEP_1) | instskip(SKIP_1) | instid1(VALU_DEP_2)
	v_sub_nc_u32_e32 v11, v15, v2
	v_ashrrev_i32_e32 v2, 31, v1
	v_subrev_nc_u32_e32 v12, s4, v11
	v_cmp_le_u32_e32 vcc_lo, s4, v11
	s_delay_alu instid0(VALU_DEP_3) | instskip(NEXT) | instid1(VALU_DEP_3)
	v_lshlrev_b64 v[9:10], 2, v[1:2]
	v_dual_cndmask_b32 v2, v11, v12 :: v_dual_add_nc_u32 v1, 32, v1
	v_cmp_ge_i32_e32 vcc_lo, v8, v3
	s_delay_alu instid0(VALU_DEP_3) | instskip(NEXT) | instid1(VALU_DEP_1)
	v_add_co_u32 v11, s2, s12, v9
	v_add_co_ci_u32_e64 v12, s2, s13, v10, s2
	s_delay_alu instid0(VALU_DEP_4) | instskip(SKIP_2) | instid1(VALU_DEP_1)
	v_subrev_nc_u32_e32 v14, s4, v2
	v_cmp_le_u32_e64 s2, s4, v2
	s_or_b32 s5, vcc_lo, s5
	v_cndmask_b32_e64 v2, v2, v14, s2
	v_add_co_u32 v9, s2, s14, v9
	s_delay_alu instid0(VALU_DEP_1) | instskip(NEXT) | instid1(VALU_DEP_3)
	v_add_co_ci_u32_e64 v10, s2, s15, v10, s2
	v_mad_u64_u32 v[13:14], null, v16, s10, v[2:3]
	v_mad_u32_u24 v2, v16, 6, v15
	global_store_b32 v[9:10], v2, off
	global_store_b32 v[11:12], v13, off
	s_and_not1_b32 exec_lo, exec_lo, s5
	s_cbranch_execnz .LBB2_13
.LBB2_14:
	s_set_inst_prefetch_distance 0x2
	s_or_b32 exec_lo, exec_lo, s3
	s_delay_alu instid0(SALU_CYCLE_1)
	s_mov_b32 s2, exec_lo
	v_cmpx_eq_u32_e32 0, v0
	s_cbranch_execz .LBB2_17
; %bb.15:
	s_load_b32 s0, s[0:1], 0x38
	s_ashr_i32 s17, s16, 31
	s_waitcnt lgkmcnt(0)
	v_dual_mov_b32 v1, 0 :: v_dual_add_nc_u32 v0, v5, v4
	s_lshl_b64 s[2:3], s[16:17], 2
	s_delay_alu instid0(SALU_CYCLE_1) | instskip(SKIP_3) | instid1(SALU_CYCLE_1)
	s_add_u32 s2, s18, s2
	s_addc_u32 s3, s19, s3
	global_store_b32 v1, v0, s[2:3]
	s_add_i32 s1, s0, -1
	s_cmp_lt_i32 s16, s1
	s_cbranch_scc1 .LBB2_17
; %bb.16:
	s_mov_b32 s1, 0
	v_add_nc_u32_e32 v0, v0, v3
	s_lshl_b64 s[0:1], s[0:1], 2
	s_delay_alu instid0(SALU_CYCLE_1)
	s_add_u32 s0, s18, s0
	s_addc_u32 s1, s19, s1
	global_store_b32 v1, v0, s[0:1]
.LBB2_17:
	s_nop 0
	s_sendmsg sendmsg(MSG_DEALLOC_VGPRS)
	s_endpgm
	.section	.rodata,"a",@progbits
	.p2align	6, 0x0
	.amdhsa_kernel _ZL13mm_ids_helperILi6EEvPKiPiS2_S2_iiiii
		.amdhsa_group_segment_fixed_size 0
		.amdhsa_private_segment_fixed_size 0
		.amdhsa_kernarg_size 312
		.amdhsa_user_sgpr_count 15
		.amdhsa_user_sgpr_dispatch_ptr 0
		.amdhsa_user_sgpr_queue_ptr 0
		.amdhsa_user_sgpr_kernarg_segment_ptr 1
		.amdhsa_user_sgpr_dispatch_id 0
		.amdhsa_user_sgpr_private_segment_size 0
		.amdhsa_wavefront_size32 1
		.amdhsa_uses_dynamic_stack 0
		.amdhsa_enable_private_segment 0
		.amdhsa_system_sgpr_workgroup_id_x 1
		.amdhsa_system_sgpr_workgroup_id_y 0
		.amdhsa_system_sgpr_workgroup_id_z 0
		.amdhsa_system_sgpr_workgroup_info 0
		.amdhsa_system_vgpr_workitem_id 0
		.amdhsa_next_free_vgpr 24
		.amdhsa_next_free_sgpr 22
		.amdhsa_reserve_vcc 1
		.amdhsa_float_round_mode_32 0
		.amdhsa_float_round_mode_16_64 0
		.amdhsa_float_denorm_mode_32 3
		.amdhsa_float_denorm_mode_16_64 3
		.amdhsa_dx10_clamp 1
		.amdhsa_ieee_mode 1
		.amdhsa_fp16_overflow 0
		.amdhsa_workgroup_processor_mode 1
		.amdhsa_memory_ordered 1
		.amdhsa_forward_progress 0
		.amdhsa_shared_vgpr_count 0
		.amdhsa_exception_fp_ieee_invalid_op 0
		.amdhsa_exception_fp_denorm_src 0
		.amdhsa_exception_fp_ieee_div_zero 0
		.amdhsa_exception_fp_ieee_overflow 0
		.amdhsa_exception_fp_ieee_underflow 0
		.amdhsa_exception_fp_ieee_inexact 0
		.amdhsa_exception_int_div_zero 0
	.end_amdhsa_kernel
	.section	.text._ZL13mm_ids_helperILi6EEvPKiPiS2_S2_iiiii,"axG",@progbits,_ZL13mm_ids_helperILi6EEvPKiPiS2_S2_iiiii,comdat
.Lfunc_end2:
	.size	_ZL13mm_ids_helperILi6EEvPKiPiS2_S2_iiiii, .Lfunc_end2-_ZL13mm_ids_helperILi6EEvPKiPiS2_S2_iiiii
                                        ; -- End function
	.section	.AMDGPU.csdata,"",@progbits
; Kernel info:
; codeLenInByte = 1428
; NumSgprs: 24
; NumVgprs: 24
; ScratchSize: 0
; MemoryBound: 0
; FloatMode: 240
; IeeeMode: 1
; LDSByteSize: 0 bytes/workgroup (compile time only)
; SGPRBlocks: 2
; VGPRBlocks: 2
; NumSGPRsForWavesPerEU: 24
; NumVGPRsForWavesPerEU: 24
; Occupancy: 16
; WaveLimiterHint : 0
; COMPUTE_PGM_RSRC2:SCRATCH_EN: 0
; COMPUTE_PGM_RSRC2:USER_SGPR: 15
; COMPUTE_PGM_RSRC2:TRAP_HANDLER: 0
; COMPUTE_PGM_RSRC2:TGID_X_EN: 1
; COMPUTE_PGM_RSRC2:TGID_Y_EN: 0
; COMPUTE_PGM_RSRC2:TGID_Z_EN: 0
; COMPUTE_PGM_RSRC2:TIDIG_COMP_CNT: 0
	.section	.text._ZL13mm_ids_helperILi8EEvPKiPiS2_S2_iiiii,"axG",@progbits,_ZL13mm_ids_helperILi8EEvPKiPiS2_S2_iiiii,comdat
	.globl	_ZL13mm_ids_helperILi8EEvPKiPiS2_S2_iiiii ; -- Begin function _ZL13mm_ids_helperILi8EEvPKiPiS2_S2_iiiii
	.p2align	8
	.type	_ZL13mm_ids_helperILi8EEvPKiPiS2_S2_iiiii,@function
_ZL13mm_ids_helperILi8EEvPKiPiS2_S2_iiiii: ; @_ZL13mm_ids_helperILi8EEvPKiPiS2_S2_iiiii
; %bb.0:
	s_clause 0x1
	s_load_b32 s7, s[0:1], 0x20
	s_load_b128 s[8:11], s[0:1], 0x28
	v_mbcnt_lo_u32_b32 v7, -1, 0
	s_mov_b32 s6, s15
	s_mov_b32 s2, 0
	s_waitcnt lgkmcnt(0)
	s_cmp_gt_i32 s7, 0
	s_cbranch_scc1 .LBB3_2
; %bb.1:
	v_mbcnt_lo_u32_b32 v1, -1, 0
	v_mov_b32_e32 v8, 0
	s_mov_b32 s3, 0
	s_delay_alu instid0(VALU_DEP_2)
	v_xor_b32_e32 v4, 4, v1
	v_xor_b32_e32 v5, 2, v1
	;; [unrolled: 1-line block ×3, first 2 shown]
	s_branch .LBB3_3
.LBB3_2:
	s_mov_b32 s2, -1
                                        ; implicit-def: $sgpr3
                                        ; implicit-def: $vgpr1
                                        ; implicit-def: $vgpr8
                                        ; implicit-def: $vgpr4
                                        ; implicit-def: $vgpr5
                                        ; implicit-def: $vgpr6
.LBB3_3:
	s_clause 0x1
	s_load_b128 s[12:15], s[0:1], 0x8
	s_load_b64 s[16:17], s[0:1], 0x18
	v_mov_b32_e32 v9, s3
	v_mov_b32_e32 v3, s3
	s_and_not1_b32 vcc_lo, exec_lo, s2
	s_cbranch_vccnz .LBB3_11
; %bb.4:
	v_xor_b32_e32 v4, 4, v7
	v_and_b32_e32 v1, 24, v7
	v_xor_b32_e32 v5, 2, v7
	v_xor_b32_e32 v6, 1, v7
	s_load_b64 s[18:19], s[0:1], 0x0
	v_dual_mov_b32 v8, 0 :: v_dual_and_b32 v3, 7, v0
	v_add_nc_u32_e32 v1, 8, v1
	v_lshrrev_b32_e32 v10, 3, v0
	v_cmp_gt_u32_e64 s2, 16, v0
	s_delay_alu instid0(VALU_DEP_4)
	v_lshlrev_b32_e32 v11, 22, v3
	v_cmp_gt_u32_e64 s3, 24, v0
	v_cmp_lt_i32_e32 vcc_lo, v4, v1
	s_mov_b32 s11, 0
	v_dual_mov_b32 v15, 0x7c :: v_dual_cndmask_b32 v2, v7, v4
	v_cmp_lt_i32_e32 vcc_lo, v5, v1
	s_delay_alu instid0(VALU_DEP_2) | instskip(SKIP_2) | instid1(VALU_DEP_3)
	v_dual_cndmask_b32 v9, v7, v5 :: v_dual_lshlrev_b32 v12, 2, v2
	v_cmp_lt_i32_e32 vcc_lo, v6, v1
	v_add_nc_u32_e32 v2, -8, v7
	v_lshlrev_b32_e32 v13, 2, v9
	v_cndmask_b32_e32 v1, v7, v6, vcc_lo
	s_delay_alu instid0(VALU_DEP_3) | instskip(SKIP_1) | instid1(VALU_DEP_3)
	v_cmp_gt_i32_e32 vcc_lo, 0, v2
	v_subrev_nc_u32_e32 v9, 24, v7
	v_lshlrev_b32_e32 v14, 2, v1
	v_add_nc_u32_e32 v1, -16, v7
	v_cndmask_b32_e32 v2, v2, v7, vcc_lo
	s_delay_alu instid0(VALU_DEP_2) | instskip(NEXT) | instid1(VALU_DEP_2)
	v_cmp_gt_i32_e32 vcc_lo, 0, v1
	v_dual_cndmask_b32 v1, v1, v7 :: v_dual_lshlrev_b32 v16, 2, v2
	v_cmp_gt_i32_e32 vcc_lo, 0, v9
	s_delay_alu instid0(VALU_DEP_2) | instskip(SKIP_3) | instid1(VALU_DEP_3)
	v_lshlrev_b32_e32 v17, 2, v1
	v_cndmask_b32_e32 v9, v9, v7, vcc_lo
	v_mad_u64_u32 v[1:2], null, s9, v10, v[3:4]
	v_cmp_gt_u32_e32 vcc_lo, 8, v0
	v_dual_mov_b32 v3, 0 :: v_dual_lshlrev_b32 v18, 2, v9
	v_mov_b32_e32 v9, 0
	s_lshl_b32 s9, s9, 2
	s_branch .LBB3_6
.LBB3_5:                                ;   in Loop: Header=BB3_6 Depth=1
	s_or_b32 exec_lo, exec_lo, s5
	s_delay_alu instid0(VALU_DEP_1) | instskip(SKIP_3) | instid1(SALU_CYCLE_1)
	v_add_nc_u32_e32 v19, v21, v20
	v_cmp_gt_i32_e64 s4, s6, v2
	v_add_nc_u32_e32 v1, s9, v1
	s_add_i32 s11, s11, 4
	s_cmp_ge_i32 s11, s7
	ds_bpermute_b32 v19, v15, v19
	v_add_co_ci_u32_e64 v9, s4, 0, v9, s4
	s_waitcnt lgkmcnt(0)
	v_add_nc_u32_e32 v3, v19, v3
	s_cbranch_scc1 .LBB3_10
.LBB3_6:                                ; =>This Inner Loop Header: Depth=1
	v_add_nc_u32_e32 v19, s11, v10
	v_bfrev_b32_e32 v2, -2
	s_mov_b32 s5, exec_lo
	s_delay_alu instid0(VALU_DEP_2)
	v_cmpx_gt_i32_e64 s7, v19
	s_cbranch_execz .LBB3_8
; %bb.7:                                ;   in Loop: Header=BB3_6 Depth=1
	v_ashrrev_i32_e32 v2, 31, v1
	s_delay_alu instid0(VALU_DEP_1) | instskip(SKIP_1) | instid1(VALU_DEP_1)
	v_lshlrev_b64 v[20:21], 2, v[1:2]
	s_waitcnt lgkmcnt(0)
	v_add_co_u32 v20, s4, s18, v20
	s_delay_alu instid0(VALU_DEP_1)
	v_add_co_ci_u32_e64 v21, s4, s19, v21, s4
	global_load_b32 v2, v[20:21], off
.LBB3_8:                                ;   in Loop: Header=BB3_6 Depth=1
	s_or_b32 exec_lo, exec_lo, s5
	s_waitcnt vmcnt(0)
	v_cmp_eq_u32_e64 s4, s6, v2
	s_delay_alu instid0(VALU_DEP_1) | instskip(SKIP_3) | instid1(VALU_DEP_1)
	v_cndmask_b32_e64 v20, 0, 1, s4
	ds_bpermute_b32 v21, v12, v20
	s_waitcnt lgkmcnt(0)
	v_or_b32_e32 v20, v21, v20
	v_cmp_ne_u32_e64 s5, 0, v20
	s_delay_alu instid0(VALU_DEP_1) | instskip(SKIP_3) | instid1(VALU_DEP_1)
	v_cndmask_b32_e64 v21, 0, 1, s5
	ds_bpermute_b32 v21, v13, v21
	s_waitcnt lgkmcnt(0)
	v_or_b32_e32 v20, v21, v20
	v_cmp_ne_u32_e64 s5, 0, v20
	;; [unrolled: 6-line block ×3, first 2 shown]
	s_delay_alu instid0(VALU_DEP_1)
	v_cndmask_b32_e64 v20, 0, 1, s5
	ds_bpermute_b32 v21, v16, v20
	ds_bpermute_b32 v22, v17, v20
	;; [unrolled: 1-line block ×3, first 2 shown]
	s_waitcnt lgkmcnt(2)
	v_cndmask_b32_e64 v21, v21, 0, vcc_lo
	s_waitcnt lgkmcnt(1)
	v_cndmask_b32_e64 v22, v22, 0, s2
	s_waitcnt lgkmcnt(0)
	v_cndmask_b32_e64 v23, v23, 0, s3
	s_delay_alu instid0(VALU_DEP_1)
	v_add3_u32 v21, v22, v21, v23
	s_and_saveexec_b32 s5, s4
	s_cbranch_execz .LBB3_5
; %bb.9:                                ;   in Loop: Header=BB3_6 Depth=1
	v_lshlrev_b32_e32 v22, 2, v3
	s_delay_alu instid0(VALU_DEP_2) | instskip(SKIP_1) | instid1(VALU_DEP_2)
	v_lshlrev_b32_e32 v23, 2, v21
	v_and_or_b32 v19, 0x3fffff, v19, v11
	v_add3_u32 v22, 0, v22, v23
	ds_store_b32 v22, v19
	s_branch .LBB3_5
.LBB3_10:
	v_mov_b32_e32 v1, v7
.LBB3_11:
	s_delay_alu instid0(VALU_DEP_1) | instskip(SKIP_3) | instid1(VALU_DEP_2)
	v_xor_b32_e32 v2, 16, v1
	v_add_nc_u32_e32 v11, 32, v8
	v_xor_b32_e32 v7, 8, v1
	s_mov_b32 s3, exec_lo
	v_cmp_lt_i32_e32 vcc_lo, v2, v11
	v_cndmask_b32_e32 v2, v1, v2, vcc_lo
	s_delay_alu instid0(VALU_DEP_3) | instskip(NEXT) | instid1(VALU_DEP_2)
	v_cmp_lt_i32_e32 vcc_lo, v7, v11
	v_dual_cndmask_b32 v7, v1, v7 :: v_dual_lshlrev_b32 v2, 2, v2
	v_cmp_lt_i32_e32 vcc_lo, v4, v11
	ds_bpermute_b32 v2, v2, v9
	v_dual_cndmask_b32 v4, v1, v4 :: v_dual_lshlrev_b32 v7, 2, v7
	v_cmp_lt_i32_e32 vcc_lo, v5, v11
	s_delay_alu instid0(VALU_DEP_2)
	v_lshlrev_b32_e32 v4, 2, v4
	s_waitcnt lgkmcnt(0)
	v_add_nc_u32_e32 v8, v2, v9
	ds_bpermute_b32 v7, v7, v8
	s_waitcnt lgkmcnt(0)
	v_add_nc_u32_e32 v10, v7, v8
	ds_bpermute_b32 v8, v4, v10
	v_cndmask_b32_e32 v4, v1, v5, vcc_lo
	v_cmp_lt_i32_e32 vcc_lo, v6, v11
	v_cndmask_b32_e32 v1, v1, v6, vcc_lo
	s_delay_alu instid0(VALU_DEP_1)
	v_lshlrev_b32_e32 v1, 2, v1
	s_waitcnt lgkmcnt(0)
	v_add_nc_u32_e32 v5, v8, v10
	v_lshlrev_b32_e32 v4, 2, v4
	ds_bpermute_b32 v10, v4, v5
	s_waitcnt lgkmcnt(0)
	v_add_nc_u32_e32 v4, v10, v5
	ds_bpermute_b32 v5, v1, v4
	v_cmpx_lt_i32_e64 v0, v3
	s_cbranch_execz .LBB3_14
; %bb.12:
	s_abs_i32 s4, s8
	v_add3_u32 v2, v2, v7, v8
	v_cvt_f32_u32_e32 v1, s4
	s_sub_i32 s2, 0, s4
	v_lshl_add_u32 v6, v0, 2, 0
	s_mov_b32 s5, 0
	v_mov_b32_e32 v8, v0
	v_rcp_iflag_f32_e32 v1, v1
	s_waitcnt_depctr 0xfff
	v_mul_f32_e32 v1, 0x4f7ffffe, v1
	s_delay_alu instid0(VALU_DEP_1) | instskip(NEXT) | instid1(VALU_DEP_1)
	v_cvt_u32_f32_e32 v11, v1
	v_mul_lo_u32 v1, s2, v11
	s_delay_alu instid0(VALU_DEP_1) | instskip(SKIP_2) | instid1(VALU_DEP_1)
	v_mul_hi_u32 v7, v11, v1
	s_waitcnt lgkmcnt(0)
	v_add3_u32 v1, v2, v10, v5
	v_add3_u32 v1, v1, v0, v9
	s_delay_alu instid0(VALU_DEP_3)
	v_add_nc_u32_e32 v7, v11, v7
	s_set_inst_prefetch_distance 0x1
	.p2align	6
.LBB3_13:                               ; =>This Inner Loop Header: Depth=1
	ds_load_b32 v13, v6
	v_add_nc_u32_e32 v8, 32, v8
	v_add_nc_u32_e32 v6, 0x80, v6
	s_waitcnt lgkmcnt(0)
	v_lshrrev_b32_e32 v15, 22, v13
	v_and_b32_e32 v16, 0x3fffff, v13
	s_delay_alu instid0(VALU_DEP_2) | instskip(NEXT) | instid1(VALU_DEP_1)
	v_mul_hi_u32 v2, v15, v7
	v_mul_lo_u32 v2, v2, s4
	s_delay_alu instid0(VALU_DEP_1) | instskip(SKIP_1) | instid1(VALU_DEP_2)
	v_sub_nc_u32_e32 v11, v15, v2
	v_ashrrev_i32_e32 v2, 31, v1
	v_subrev_nc_u32_e32 v12, s4, v11
	v_cmp_le_u32_e32 vcc_lo, s4, v11
	s_delay_alu instid0(VALU_DEP_3) | instskip(NEXT) | instid1(VALU_DEP_3)
	v_lshlrev_b64 v[9:10], 2, v[1:2]
	v_dual_cndmask_b32 v2, v11, v12 :: v_dual_add_nc_u32 v1, 32, v1
	v_cmp_ge_i32_e32 vcc_lo, v8, v3
	s_delay_alu instid0(VALU_DEP_3) | instskip(NEXT) | instid1(VALU_DEP_1)
	v_add_co_u32 v11, s2, s12, v9
	v_add_co_ci_u32_e64 v12, s2, s13, v10, s2
	s_delay_alu instid0(VALU_DEP_4) | instskip(SKIP_2) | instid1(VALU_DEP_1)
	v_subrev_nc_u32_e32 v14, s4, v2
	v_cmp_le_u32_e64 s2, s4, v2
	s_or_b32 s5, vcc_lo, s5
	v_cndmask_b32_e64 v2, v2, v14, s2
	v_add_co_u32 v9, s2, s14, v9
	s_delay_alu instid0(VALU_DEP_1) | instskip(NEXT) | instid1(VALU_DEP_3)
	v_add_co_ci_u32_e64 v10, s2, s15, v10, s2
	v_mad_u64_u32 v[13:14], null, v16, s10, v[2:3]
	v_lshl_add_u32 v2, v16, 3, v15
	global_store_b32 v[9:10], v2, off
	global_store_b32 v[11:12], v13, off
	s_and_not1_b32 exec_lo, exec_lo, s5
	s_cbranch_execnz .LBB3_13
.LBB3_14:
	s_set_inst_prefetch_distance 0x2
	s_or_b32 exec_lo, exec_lo, s3
	s_delay_alu instid0(SALU_CYCLE_1)
	s_mov_b32 s2, exec_lo
	v_cmpx_eq_u32_e32 0, v0
	s_cbranch_execz .LBB3_17
; %bb.15:
	s_load_b32 s0, s[0:1], 0x38
	s_ashr_i32 s7, s6, 31
	s_waitcnt lgkmcnt(0)
	v_dual_mov_b32 v1, 0 :: v_dual_add_nc_u32 v0, v5, v4
	s_lshl_b64 s[2:3], s[6:7], 2
	s_delay_alu instid0(SALU_CYCLE_1) | instskip(SKIP_3) | instid1(SALU_CYCLE_1)
	s_add_u32 s2, s16, s2
	s_addc_u32 s3, s17, s3
	global_store_b32 v1, v0, s[2:3]
	s_add_i32 s1, s0, -1
	s_cmp_lt_i32 s6, s1
	s_cbranch_scc1 .LBB3_17
; %bb.16:
	s_mov_b32 s1, 0
	v_add_nc_u32_e32 v0, v0, v3
	s_lshl_b64 s[0:1], s[0:1], 2
	s_delay_alu instid0(SALU_CYCLE_1)
	s_add_u32 s0, s16, s0
	s_addc_u32 s1, s17, s1
	global_store_b32 v1, v0, s[0:1]
.LBB3_17:
	s_nop 0
	s_sendmsg sendmsg(MSG_DEALLOC_VGPRS)
	s_endpgm
	.section	.rodata,"a",@progbits
	.p2align	6, 0x0
	.amdhsa_kernel _ZL13mm_ids_helperILi8EEvPKiPiS2_S2_iiiii
		.amdhsa_group_segment_fixed_size 0
		.amdhsa_private_segment_fixed_size 0
		.amdhsa_kernarg_size 312
		.amdhsa_user_sgpr_count 15
		.amdhsa_user_sgpr_dispatch_ptr 0
		.amdhsa_user_sgpr_queue_ptr 0
		.amdhsa_user_sgpr_kernarg_segment_ptr 1
		.amdhsa_user_sgpr_dispatch_id 0
		.amdhsa_user_sgpr_private_segment_size 0
		.amdhsa_wavefront_size32 1
		.amdhsa_uses_dynamic_stack 0
		.amdhsa_enable_private_segment 0
		.amdhsa_system_sgpr_workgroup_id_x 1
		.amdhsa_system_sgpr_workgroup_id_y 0
		.amdhsa_system_sgpr_workgroup_id_z 0
		.amdhsa_system_sgpr_workgroup_info 0
		.amdhsa_system_vgpr_workitem_id 0
		.amdhsa_next_free_vgpr 24
		.amdhsa_next_free_sgpr 20
		.amdhsa_reserve_vcc 1
		.amdhsa_float_round_mode_32 0
		.amdhsa_float_round_mode_16_64 0
		.amdhsa_float_denorm_mode_32 3
		.amdhsa_float_denorm_mode_16_64 3
		.amdhsa_dx10_clamp 1
		.amdhsa_ieee_mode 1
		.amdhsa_fp16_overflow 0
		.amdhsa_workgroup_processor_mode 1
		.amdhsa_memory_ordered 1
		.amdhsa_forward_progress 0
		.amdhsa_shared_vgpr_count 0
		.amdhsa_exception_fp_ieee_invalid_op 0
		.amdhsa_exception_fp_denorm_src 0
		.amdhsa_exception_fp_ieee_div_zero 0
		.amdhsa_exception_fp_ieee_overflow 0
		.amdhsa_exception_fp_ieee_underflow 0
		.amdhsa_exception_fp_ieee_inexact 0
		.amdhsa_exception_int_div_zero 0
	.end_amdhsa_kernel
	.section	.text._ZL13mm_ids_helperILi8EEvPKiPiS2_S2_iiiii,"axG",@progbits,_ZL13mm_ids_helperILi8EEvPKiPiS2_S2_iiiii,comdat
.Lfunc_end3:
	.size	_ZL13mm_ids_helperILi8EEvPKiPiS2_S2_iiiii, .Lfunc_end3-_ZL13mm_ids_helperILi8EEvPKiPiS2_S2_iiiii
                                        ; -- End function
	.section	.AMDGPU.csdata,"",@progbits
; Kernel info:
; codeLenInByte = 1352
; NumSgprs: 22
; NumVgprs: 24
; ScratchSize: 0
; MemoryBound: 0
; FloatMode: 240
; IeeeMode: 1
; LDSByteSize: 0 bytes/workgroup (compile time only)
; SGPRBlocks: 2
; VGPRBlocks: 2
; NumSGPRsForWavesPerEU: 22
; NumVGPRsForWavesPerEU: 24
; Occupancy: 16
; WaveLimiterHint : 0
; COMPUTE_PGM_RSRC2:SCRATCH_EN: 0
; COMPUTE_PGM_RSRC2:USER_SGPR: 15
; COMPUTE_PGM_RSRC2:TRAP_HANDLER: 0
; COMPUTE_PGM_RSRC2:TGID_X_EN: 1
; COMPUTE_PGM_RSRC2:TGID_Y_EN: 0
; COMPUTE_PGM_RSRC2:TGID_Z_EN: 0
; COMPUTE_PGM_RSRC2:TIDIG_COMP_CNT: 0
	.section	.text._ZL13mm_ids_helperILi16EEvPKiPiS2_S2_iiiii,"axG",@progbits,_ZL13mm_ids_helperILi16EEvPKiPiS2_S2_iiiii,comdat
	.globl	_ZL13mm_ids_helperILi16EEvPKiPiS2_S2_iiiii ; -- Begin function _ZL13mm_ids_helperILi16EEvPKiPiS2_S2_iiiii
	.p2align	8
	.type	_ZL13mm_ids_helperILi16EEvPKiPiS2_S2_iiiii,@function
_ZL13mm_ids_helperILi16EEvPKiPiS2_S2_iiiii: ; @_ZL13mm_ids_helperILi16EEvPKiPiS2_S2_iiiii
; %bb.0:
	s_clause 0x1
	s_load_b32 s13, s[0:1], 0x20
	s_load_b128 s[4:7], s[0:1], 0x28
	v_mbcnt_lo_u32_b32 v7, -1, 0
	s_mov_b32 s12, s15
	s_mov_b32 s2, 0
	s_waitcnt lgkmcnt(0)
	s_cmp_gt_i32 s13, 0
	s_cbranch_scc1 .LBB4_2
; %bb.1:
	v_mbcnt_lo_u32_b32 v1, -1, 0
	v_mov_b32_e32 v9, 0
	s_mov_b32 s3, 0
	s_delay_alu instid0(VALU_DEP_2)
	v_xor_b32_e32 v4, 8, v1
	v_xor_b32_e32 v5, 4, v1
	;; [unrolled: 1-line block ×4, first 2 shown]
	s_branch .LBB4_3
.LBB4_2:
	s_mov_b32 s2, -1
                                        ; implicit-def: $sgpr3
                                        ; implicit-def: $vgpr1
                                        ; implicit-def: $vgpr9
                                        ; implicit-def: $vgpr4
                                        ; implicit-def: $vgpr5
                                        ; implicit-def: $vgpr6
                                        ; implicit-def: $vgpr8
.LBB4_3:
	s_clause 0x1
	s_load_b128 s[8:11], s[0:1], 0x8
	s_load_b64 s[14:15], s[0:1], 0x18
	v_dual_mov_b32 v10, s3 :: v_dual_mov_b32 v3, s3
	s_and_not1_b32 vcc_lo, exec_lo, s2
	s_cbranch_vccnz .LBB4_11
; %bb.4:
	v_xor_b32_e32 v4, 8, v7
	v_and_b32_e32 v1, 16, v7
	v_add_nc_u32_e32 v17, -16, v7
	v_xor_b32_e32 v5, 4, v7
	v_xor_b32_e32 v6, 2, v7
	;; [unrolled: 1-line block ×3, first 2 shown]
	v_add_nc_u32_e32 v1, 16, v1
	s_load_b64 s[16:17], s[0:1], 0x0
	v_lshrrev_b32_e32 v11, 4, v0
	s_mov_b32 s7, 0
	s_delay_alu instid0(VALU_DEP_2) | instskip(SKIP_3) | instid1(VALU_DEP_3)
	v_cmp_lt_i32_e32 vcc_lo, v4, v1
	v_cndmask_b32_e32 v2, v7, v4, vcc_lo
	v_cmp_lt_i32_e32 vcc_lo, v5, v1
	v_and_b32_e32 v3, 15, v0
	v_dual_cndmask_b32 v10, v7, v5 :: v_dual_lshlrev_b32 v13, 2, v2
	v_cmp_lt_i32_e32 vcc_lo, v6, v1
	s_delay_alu instid0(VALU_DEP_3) | instskip(NEXT) | instid1(VALU_DEP_3)
	v_dual_mov_b32 v9, 0 :: v_dual_lshlrev_b32 v12, 22, v3
	v_lshlrev_b32_e32 v14, 2, v10
	v_cndmask_b32_e32 v15, v7, v6, vcc_lo
	v_cmp_lt_i32_e32 vcc_lo, v8, v1
	v_cndmask_b32_e32 v1, v7, v8, vcc_lo
	v_cmp_gt_i32_e32 vcc_lo, 0, v17
	s_delay_alu instid0(VALU_DEP_2) | instskip(SKIP_3) | instid1(VALU_DEP_3)
	v_lshlrev_b32_e32 v16, 2, v1
	v_cndmask_b32_e32 v10, v17, v7, vcc_lo
	v_mad_u64_u32 v[1:2], null, s5, v11, v[3:4]
	v_lshlrev_b32_e32 v15, 2, v15
	v_dual_mov_b32 v17, 0x7c :: v_dual_lshlrev_b32 v18, 2, v10
	v_cmp_gt_u32_e32 vcc_lo, 16, v0
	v_dual_mov_b32 v10, 0 :: v_dual_mov_b32 v3, 0
	s_lshl_b32 s5, s5, 1
	s_branch .LBB4_6
.LBB4_5:                                ;   in Loop: Header=BB4_6 Depth=1
	s_or_b32 exec_lo, exec_lo, s3
	s_delay_alu instid0(VALU_DEP_1) | instskip(SKIP_3) | instid1(SALU_CYCLE_1)
	v_add_nc_u32_e32 v19, v21, v20
	v_cmp_gt_i32_e64 s2, s12, v2
	v_add_nc_u32_e32 v1, s5, v1
	s_add_i32 s7, s7, 2
	s_cmp_ge_i32 s7, s13
	ds_bpermute_b32 v19, v17, v19
	v_add_co_ci_u32_e64 v10, s2, 0, v10, s2
	s_waitcnt lgkmcnt(0)
	v_add_nc_u32_e32 v3, v19, v3
	s_cbranch_scc1 .LBB4_10
.LBB4_6:                                ; =>This Inner Loop Header: Depth=1
	v_add_nc_u32_e32 v19, s7, v11
	v_bfrev_b32_e32 v2, -2
	s_mov_b32 s3, exec_lo
	s_delay_alu instid0(VALU_DEP_2)
	v_cmpx_gt_i32_e64 s13, v19
	s_cbranch_execz .LBB4_8
; %bb.7:                                ;   in Loop: Header=BB4_6 Depth=1
	v_ashrrev_i32_e32 v2, 31, v1
	s_delay_alu instid0(VALU_DEP_1) | instskip(SKIP_1) | instid1(VALU_DEP_1)
	v_lshlrev_b64 v[20:21], 2, v[1:2]
	s_waitcnt lgkmcnt(0)
	v_add_co_u32 v20, s2, s16, v20
	s_delay_alu instid0(VALU_DEP_1)
	v_add_co_ci_u32_e64 v21, s2, s17, v21, s2
	global_load_b32 v2, v[20:21], off
.LBB4_8:                                ;   in Loop: Header=BB4_6 Depth=1
	s_or_b32 exec_lo, exec_lo, s3
	s_waitcnt vmcnt(0)
	v_cmp_eq_u32_e64 s2, s12, v2
	s_delay_alu instid0(VALU_DEP_1) | instskip(SKIP_3) | instid1(VALU_DEP_1)
	v_cndmask_b32_e64 v20, 0, 1, s2
	ds_bpermute_b32 v21, v13, v20
	s_waitcnt lgkmcnt(0)
	v_or_b32_e32 v20, v21, v20
	v_cmp_ne_u32_e64 s3, 0, v20
	s_delay_alu instid0(VALU_DEP_1) | instskip(SKIP_3) | instid1(VALU_DEP_1)
	v_cndmask_b32_e64 v21, 0, 1, s3
	ds_bpermute_b32 v21, v14, v21
	s_waitcnt lgkmcnt(0)
	v_or_b32_e32 v20, v21, v20
	v_cmp_ne_u32_e64 s3, 0, v20
	;; [unrolled: 6-line block ×4, first 2 shown]
	s_delay_alu instid0(VALU_DEP_1)
	v_cndmask_b32_e64 v20, 0, 1, s3
	ds_bpermute_b32 v21, v18, v20
	s_waitcnt lgkmcnt(0)
	v_cndmask_b32_e64 v21, v21, 0, vcc_lo
	s_and_saveexec_b32 s3, s2
	s_cbranch_execz .LBB4_5
; %bb.9:                                ;   in Loop: Header=BB4_6 Depth=1
	v_lshlrev_b32_e32 v22, 2, v3
	s_delay_alu instid0(VALU_DEP_2) | instskip(SKIP_1) | instid1(VALU_DEP_2)
	v_lshlrev_b32_e32 v23, 2, v21
	v_and_or_b32 v19, 0x3fffff, v19, v12
	v_add3_u32 v22, 0, v22, v23
	ds_store_b32 v22, v19
	s_branch .LBB4_5
.LBB4_10:
	v_mov_b32_e32 v1, v7
.LBB4_11:
	s_delay_alu instid0(VALU_DEP_1) | instskip(SKIP_2) | instid1(VALU_DEP_1)
	v_xor_b32_e32 v2, 16, v1
	v_add_nc_u32_e32 v11, 32, v9
	s_mov_b32 s3, exec_lo
	v_cmp_lt_i32_e32 vcc_lo, v2, v11
	v_cndmask_b32_e32 v2, v1, v2, vcc_lo
	v_cmp_lt_i32_e32 vcc_lo, v4, v11
	s_delay_alu instid0(VALU_DEP_2)
	v_lshlrev_b32_e32 v2, 2, v2
	ds_bpermute_b32 v2, v2, v10
	v_cndmask_b32_e32 v4, v1, v4, vcc_lo
	v_cmp_lt_i32_e32 vcc_lo, v5, v11
	s_waitcnt lgkmcnt(0)
	v_add_nc_u32_e32 v9, v2, v10
	s_delay_alu instid0(VALU_DEP_3) | instskip(SKIP_3) | instid1(VALU_DEP_2)
	v_lshlrev_b32_e32 v4, 2, v4
	ds_bpermute_b32 v7, v4, v9
	v_cndmask_b32_e32 v4, v1, v5, vcc_lo
	v_cmp_lt_i32_e32 vcc_lo, v6, v11
	v_lshlrev_b32_e32 v4, 2, v4
	s_waitcnt lgkmcnt(0)
	v_add_nc_u32_e32 v5, v7, v9
	ds_bpermute_b32 v9, v4, v5
	v_cndmask_b32_e32 v4, v1, v6, vcc_lo
	v_cmp_lt_i32_e32 vcc_lo, v8, v11
	s_delay_alu instid0(VALU_DEP_2) | instskip(SKIP_1) | instid1(VALU_DEP_1)
	v_lshlrev_b32_e32 v4, 2, v4
	v_cndmask_b32_e32 v1, v1, v8, vcc_lo
	v_lshlrev_b32_e32 v1, 2, v1
	s_waitcnt lgkmcnt(0)
	v_add_nc_u32_e32 v5, v9, v5
	ds_bpermute_b32 v6, v4, v5
	s_waitcnt lgkmcnt(0)
	v_add_nc_u32_e32 v4, v6, v5
	ds_bpermute_b32 v5, v1, v4
	v_cmpx_lt_i32_e64 v0, v3
	s_cbranch_execz .LBB4_14
; %bb.12:
	s_abs_i32 s4, s4
	v_add3_u32 v2, v2, v7, v9
	v_cvt_f32_u32_e32 v1, s4
	s_sub_i32 s2, 0, s4
	s_mov_b32 s5, 0
	s_delay_alu instid0(VALU_DEP_1) | instskip(SKIP_2) | instid1(VALU_DEP_1)
	v_rcp_iflag_f32_e32 v1, v1
	s_waitcnt_depctr 0xfff
	v_mul_f32_e32 v1, 0x4f7ffffe, v1
	v_cvt_u32_f32_e32 v8, v1
	s_delay_alu instid0(VALU_DEP_1) | instskip(NEXT) | instid1(VALU_DEP_1)
	v_mul_lo_u32 v1, s2, v8
	v_mul_hi_u32 v7, v8, v1
	s_waitcnt lgkmcnt(0)
	v_add3_u32 v1, v2, v6, v5
	v_lshl_add_u32 v6, v0, 2, 0
	s_delay_alu instid0(VALU_DEP_2) | instskip(NEXT) | instid1(VALU_DEP_4)
	v_add3_u32 v1, v1, v0, v10
	v_add_nc_u32_e32 v7, v8, v7
	v_mov_b32_e32 v8, v0
	s_set_inst_prefetch_distance 0x1
	.p2align	6
.LBB4_13:                               ; =>This Inner Loop Header: Depth=1
	ds_load_b32 v13, v6
	v_add_nc_u32_e32 v8, 32, v8
	v_add_nc_u32_e32 v6, 0x80, v6
	s_waitcnt lgkmcnt(0)
	v_lshrrev_b32_e32 v15, 22, v13
	v_and_b32_e32 v16, 0x3fffff, v13
	s_delay_alu instid0(VALU_DEP_2) | instskip(NEXT) | instid1(VALU_DEP_1)
	v_mul_hi_u32 v2, v15, v7
	v_mul_lo_u32 v2, v2, s4
	s_delay_alu instid0(VALU_DEP_1) | instskip(SKIP_1) | instid1(VALU_DEP_2)
	v_sub_nc_u32_e32 v11, v15, v2
	v_ashrrev_i32_e32 v2, 31, v1
	v_subrev_nc_u32_e32 v12, s4, v11
	v_cmp_le_u32_e32 vcc_lo, s4, v11
	s_delay_alu instid0(VALU_DEP_3) | instskip(NEXT) | instid1(VALU_DEP_3)
	v_lshlrev_b64 v[9:10], 2, v[1:2]
	v_dual_cndmask_b32 v2, v11, v12 :: v_dual_add_nc_u32 v1, 32, v1
	v_cmp_ge_i32_e32 vcc_lo, v8, v3
	s_delay_alu instid0(VALU_DEP_3) | instskip(NEXT) | instid1(VALU_DEP_1)
	v_add_co_u32 v11, s2, s8, v9
	v_add_co_ci_u32_e64 v12, s2, s9, v10, s2
	s_delay_alu instid0(VALU_DEP_4) | instskip(SKIP_2) | instid1(VALU_DEP_1)
	v_subrev_nc_u32_e32 v14, s4, v2
	v_cmp_le_u32_e64 s2, s4, v2
	s_or_b32 s5, vcc_lo, s5
	v_cndmask_b32_e64 v2, v2, v14, s2
	v_add_co_u32 v9, s2, s10, v9
	s_delay_alu instid0(VALU_DEP_1) | instskip(NEXT) | instid1(VALU_DEP_3)
	v_add_co_ci_u32_e64 v10, s2, s11, v10, s2
	v_mad_u64_u32 v[13:14], null, v16, s6, v[2:3]
	v_lshl_add_u32 v2, v16, 4, v15
	global_store_b32 v[9:10], v2, off
	global_store_b32 v[11:12], v13, off
	s_and_not1_b32 exec_lo, exec_lo, s5
	s_cbranch_execnz .LBB4_13
.LBB4_14:
	s_set_inst_prefetch_distance 0x2
	s_or_b32 exec_lo, exec_lo, s3
	s_delay_alu instid0(SALU_CYCLE_1)
	s_mov_b32 s2, exec_lo
	v_cmpx_eq_u32_e32 0, v0
	s_cbranch_execz .LBB4_17
; %bb.15:
	s_load_b32 s0, s[0:1], 0x38
	s_ashr_i32 s13, s12, 31
	s_waitcnt lgkmcnt(0)
	v_dual_mov_b32 v1, 0 :: v_dual_add_nc_u32 v0, v5, v4
	s_lshl_b64 s[2:3], s[12:13], 2
	s_delay_alu instid0(SALU_CYCLE_1) | instskip(SKIP_3) | instid1(SALU_CYCLE_1)
	s_add_u32 s2, s14, s2
	s_addc_u32 s3, s15, s3
	global_store_b32 v1, v0, s[2:3]
	s_add_i32 s1, s0, -1
	s_cmp_lt_i32 s12, s1
	s_cbranch_scc1 .LBB4_17
; %bb.16:
	s_mov_b32 s1, 0
	v_add_nc_u32_e32 v0, v0, v3
	s_lshl_b64 s[0:1], s[0:1], 2
	s_delay_alu instid0(SALU_CYCLE_1)
	s_add_u32 s0, s14, s0
	s_addc_u32 s1, s15, s1
	global_store_b32 v1, v0, s[0:1]
.LBB4_17:
	s_nop 0
	s_sendmsg sendmsg(MSG_DEALLOC_VGPRS)
	s_endpgm
	.section	.rodata,"a",@progbits
	.p2align	6, 0x0
	.amdhsa_kernel _ZL13mm_ids_helperILi16EEvPKiPiS2_S2_iiiii
		.amdhsa_group_segment_fixed_size 0
		.amdhsa_private_segment_fixed_size 0
		.amdhsa_kernarg_size 312
		.amdhsa_user_sgpr_count 15
		.amdhsa_user_sgpr_dispatch_ptr 0
		.amdhsa_user_sgpr_queue_ptr 0
		.amdhsa_user_sgpr_kernarg_segment_ptr 1
		.amdhsa_user_sgpr_dispatch_id 0
		.amdhsa_user_sgpr_private_segment_size 0
		.amdhsa_wavefront_size32 1
		.amdhsa_uses_dynamic_stack 0
		.amdhsa_enable_private_segment 0
		.amdhsa_system_sgpr_workgroup_id_x 1
		.amdhsa_system_sgpr_workgroup_id_y 0
		.amdhsa_system_sgpr_workgroup_id_z 0
		.amdhsa_system_sgpr_workgroup_info 0
		.amdhsa_system_vgpr_workitem_id 0
		.amdhsa_next_free_vgpr 24
		.amdhsa_next_free_sgpr 18
		.amdhsa_reserve_vcc 1
		.amdhsa_float_round_mode_32 0
		.amdhsa_float_round_mode_16_64 0
		.amdhsa_float_denorm_mode_32 3
		.amdhsa_float_denorm_mode_16_64 3
		.amdhsa_dx10_clamp 1
		.amdhsa_ieee_mode 1
		.amdhsa_fp16_overflow 0
		.amdhsa_workgroup_processor_mode 1
		.amdhsa_memory_ordered 1
		.amdhsa_forward_progress 0
		.amdhsa_shared_vgpr_count 0
		.amdhsa_exception_fp_ieee_invalid_op 0
		.amdhsa_exception_fp_denorm_src 0
		.amdhsa_exception_fp_ieee_div_zero 0
		.amdhsa_exception_fp_ieee_overflow 0
		.amdhsa_exception_fp_ieee_underflow 0
		.amdhsa_exception_fp_ieee_inexact 0
		.amdhsa_exception_int_div_zero 0
	.end_amdhsa_kernel
	.section	.text._ZL13mm_ids_helperILi16EEvPKiPiS2_S2_iiiii,"axG",@progbits,_ZL13mm_ids_helperILi16EEvPKiPiS2_S2_iiiii,comdat
.Lfunc_end4:
	.size	_ZL13mm_ids_helperILi16EEvPKiPiS2_S2_iiiii, .Lfunc_end4-_ZL13mm_ids_helperILi16EEvPKiPiS2_S2_iiiii
                                        ; -- End function
	.section	.AMDGPU.csdata,"",@progbits
; Kernel info:
; codeLenInByte = 1296
; NumSgprs: 20
; NumVgprs: 24
; ScratchSize: 0
; MemoryBound: 0
; FloatMode: 240
; IeeeMode: 1
; LDSByteSize: 0 bytes/workgroup (compile time only)
; SGPRBlocks: 2
; VGPRBlocks: 2
; NumSGPRsForWavesPerEU: 20
; NumVGPRsForWavesPerEU: 24
; Occupancy: 16
; WaveLimiterHint : 0
; COMPUTE_PGM_RSRC2:SCRATCH_EN: 0
; COMPUTE_PGM_RSRC2:USER_SGPR: 15
; COMPUTE_PGM_RSRC2:TRAP_HANDLER: 0
; COMPUTE_PGM_RSRC2:TGID_X_EN: 1
; COMPUTE_PGM_RSRC2:TGID_Y_EN: 0
; COMPUTE_PGM_RSRC2:TGID_Z_EN: 0
; COMPUTE_PGM_RSRC2:TIDIG_COMP_CNT: 0
	.section	.text._ZL13mm_ids_helperILi32EEvPKiPiS2_S2_iiiii,"axG",@progbits,_ZL13mm_ids_helperILi32EEvPKiPiS2_S2_iiiii,comdat
	.globl	_ZL13mm_ids_helperILi32EEvPKiPiS2_S2_iiiii ; -- Begin function _ZL13mm_ids_helperILi32EEvPKiPiS2_S2_iiiii
	.p2align	8
	.type	_ZL13mm_ids_helperILi32EEvPKiPiS2_S2_iiiii,@function
_ZL13mm_ids_helperILi32EEvPKiPiS2_S2_iiiii: ; @_ZL13mm_ids_helperILi32EEvPKiPiS2_S2_iiiii
; %bb.0:
	s_clause 0x1
	s_load_b32 s3, s[0:1], 0x20
	s_load_b128 s[4:7], s[0:1], 0x28
	v_mbcnt_lo_u32_b32 v5, -1, 0
	s_mov_b32 s12, s15
	s_mov_b32 s2, 0
	s_waitcnt lgkmcnt(0)
	s_cmp_gt_i32 s3, 0
	s_cbranch_scc1 .LBB5_2
; %bb.1:
	v_mbcnt_lo_u32_b32 v1, -1, 0
	s_branch .LBB5_3
.LBB5_2:
	s_mov_b32 s2, -1
                                        ; implicit-def: $vgpr1
.LBB5_3:
	s_clause 0x1
	s_load_b128 s[8:11], s[0:1], 0x8
	s_load_b64 s[14:15], s[0:1], 0x18
	v_cndmask_b32_e64 v2, 0, 1, s2
	v_dual_mov_b32 v4, s2 :: v_dual_mov_b32 v3, s2
	s_delay_alu instid0(VALU_DEP_2)
	v_cmp_ne_u32_e32 vcc_lo, 1, v2
	s_cbranch_vccnz .LBB5_11
; %bb.4:
	s_load_b64 s[16:17], s[0:1], 0x0
	v_dual_mov_b32 v6, 0 :: v_dual_lshlrev_b32 v7, 22, v0
	v_dual_mov_b32 v4, 0 :: v_dual_mov_b32 v1, v0
	v_dual_mov_b32 v8, 0 :: v_dual_mov_b32 v3, 0
	s_mov_b32 s7, s3
	s_set_inst_prefetch_distance 0x1
	s_branch .LBB5_6
	.p2align	6
.LBB5_5:                                ;   in Loop: Header=BB5_6 Depth=1
	s_or_b32 exec_lo, exec_lo, s13
	s_cmp_lg_u32 vcc_lo, 0
	v_cmp_gt_i32_e32 vcc_lo, s12, v2
	s_cselect_b32 s2, -1, 0
	v_add_nc_u32_e32 v8, 1, v8
	v_cndmask_b32_e64 v9, 0, 1, s2
	v_add_nc_u32_e32 v1, s5, v1
	v_add_co_ci_u32_e32 v4, vcc_lo, 0, v4, vcc_lo
	s_add_i32 s7, s7, -1
	ds_bpermute_b32 v9, v6, v9 offset:124
	s_cmp_eq_u32 s7, 0
	s_waitcnt lgkmcnt(0)
	v_add_nc_u32_e32 v3, v9, v3
	s_cbranch_scc1 .LBB5_10
.LBB5_6:                                ; =>This Inner Loop Header: Depth=1
	v_bfrev_b32_e32 v2, -2
	s_mov_b32 s2, exec_lo
	v_cmpx_gt_i32_e64 s3, v8
	s_cbranch_execz .LBB5_8
; %bb.7:                                ;   in Loop: Header=BB5_6 Depth=1
	v_ashrrev_i32_e32 v2, 31, v1
	s_delay_alu instid0(VALU_DEP_1) | instskip(SKIP_1) | instid1(VALU_DEP_1)
	v_lshlrev_b64 v[9:10], 2, v[1:2]
	s_waitcnt lgkmcnt(0)
	v_add_co_u32 v9, vcc_lo, s16, v9
	s_delay_alu instid0(VALU_DEP_2)
	v_add_co_ci_u32_e32 v10, vcc_lo, s17, v10, vcc_lo
	global_load_b32 v2, v[9:10], off
.LBB5_8:                                ;   in Loop: Header=BB5_6 Depth=1
	s_or_b32 exec_lo, exec_lo, s2
	s_waitcnt vmcnt(0)
	v_cmp_eq_u32_e64 s2, s12, v2
	s_delay_alu instid0(VALU_DEP_1) | instskip(SKIP_1) | instid1(VALU_DEP_1)
	v_cndmask_b32_e64 v9, 0, 1, s2
	;;#ASMSTART
	;;#ASMEND
	v_cmp_ne_u32_e32 vcc_lo, 0, v9
	s_and_saveexec_b32 s13, s2
	s_cbranch_execz .LBB5_5
; %bb.9:                                ;   in Loop: Header=BB5_6 Depth=1
	v_lshl_add_u32 v9, v3, 2, 0
	v_and_or_b32 v10, 0x3fffff, v8, v7
	ds_store_b32 v9, v10
	s_branch .LBB5_5
.LBB5_10:
	s_set_inst_prefetch_distance 0x2
	v_mov_b32_e32 v1, v5
.LBB5_11:
	s_delay_alu instid0(VALU_DEP_1) | instskip(SKIP_2) | instid1(VALU_DEP_2)
	v_and_b32_e32 v2, 0xffffffe0, v1
	v_xor_b32_e32 v5, 16, v1
	s_mov_b32 s3, exec_lo
	v_add_nc_u32_e32 v6, 32, v2
	s_delay_alu instid0(VALU_DEP_1) | instskip(SKIP_2) | instid1(VALU_DEP_2)
	v_cmp_lt_i32_e32 vcc_lo, v5, v6
	v_cndmask_b32_e32 v2, v1, v5, vcc_lo
	v_xor_b32_e32 v5, 8, v1
	v_lshlrev_b32_e32 v2, 2, v2
	s_delay_alu instid0(VALU_DEP_2) | instskip(SKIP_2) | instid1(VALU_DEP_1)
	v_cmp_lt_i32_e32 vcc_lo, v5, v6
	ds_bpermute_b32 v2, v2, v4
	v_cndmask_b32_e32 v5, v1, v5, vcc_lo
	v_lshlrev_b32_e32 v5, 2, v5
	s_waitcnt lgkmcnt(0)
	v_add_nc_u32_e32 v8, v2, v4
	ds_bpermute_b32 v7, v5, v8
	v_xor_b32_e32 v5, 4, v1
	s_delay_alu instid0(VALU_DEP_1) | instskip(SKIP_1) | instid1(VALU_DEP_1)
	v_cmp_lt_i32_e32 vcc_lo, v5, v6
	v_cndmask_b32_e32 v5, v1, v5, vcc_lo
	v_lshlrev_b32_e32 v5, 2, v5
	s_waitcnt lgkmcnt(0)
	v_add_nc_u32_e32 v9, v7, v8
	ds_bpermute_b32 v8, v5, v9
	v_xor_b32_e32 v5, 2, v1
	s_delay_alu instid0(VALU_DEP_1) | instskip(SKIP_1) | instid1(VALU_DEP_1)
	v_cmp_lt_i32_e32 vcc_lo, v5, v6
	;; [unrolled: 8-line block ×3, first 2 shown]
	v_cndmask_b32_e32 v1, v1, v5, vcc_lo
	v_lshlrev_b32_e32 v1, 2, v1
	s_waitcnt lgkmcnt(0)
	v_add_nc_u32_e32 v5, v9, v10
	ds_bpermute_b32 v6, v1, v5
	v_cmpx_lt_i32_e64 v0, v3
	s_cbranch_execz .LBB5_14
; %bb.12:
	s_abs_i32 s4, s4
	v_add3_u32 v2, v2, v7, v8
	v_cvt_f32_u32_e32 v1, s4
	s_sub_i32 s2, 0, s4
	v_lshl_add_u32 v7, v0, 2, 0
	s_mov_b32 s5, 0
	s_delay_alu instid0(VALU_DEP_2) | instskip(SKIP_2) | instid1(VALU_DEP_1)
	v_rcp_iflag_f32_e32 v1, v1
	s_waitcnt_depctr 0xfff
	v_mul_f32_e32 v1, 0x4f7ffffe, v1
	v_cvt_u32_f32_e32 v10, v1
	s_delay_alu instid0(VALU_DEP_1) | instskip(NEXT) | instid1(VALU_DEP_1)
	v_mul_lo_u32 v1, s2, v10
	v_mul_hi_u32 v8, v10, v1
	s_waitcnt lgkmcnt(0)
	v_add3_u32 v1, v2, v9, v6
	s_delay_alu instid0(VALU_DEP_1) | instskip(NEXT) | instid1(VALU_DEP_3)
	v_add3_u32 v1, v1, v0, v4
	v_add_nc_u32_e32 v4, v10, v8
	v_mov_b32_e32 v8, v0
	s_set_inst_prefetch_distance 0x1
	.p2align	6
.LBB5_13:                               ; =>This Inner Loop Header: Depth=1
	ds_load_b32 v13, v7
	v_add_nc_u32_e32 v8, 32, v8
	s_waitcnt lgkmcnt(0)
	v_lshrrev_b32_e32 v15, 22, v13
	v_and_b32_e32 v16, 0x3fffff, v13
	s_delay_alu instid0(VALU_DEP_2) | instskip(NEXT) | instid1(VALU_DEP_1)
	v_mul_hi_u32 v2, v15, v4
	v_mul_lo_u32 v2, v2, s4
	s_delay_alu instid0(VALU_DEP_1) | instskip(SKIP_1) | instid1(VALU_DEP_2)
	v_sub_nc_u32_e32 v11, v15, v2
	v_ashrrev_i32_e32 v2, 31, v1
	v_subrev_nc_u32_e32 v12, s4, v11
	v_cmp_le_u32_e32 vcc_lo, s4, v11
	s_delay_alu instid0(VALU_DEP_3) | instskip(SKIP_1) | instid1(VALU_DEP_4)
	v_lshlrev_b64 v[9:10], 2, v[1:2]
	v_add_nc_u32_e32 v7, 0x80, v7
	v_dual_cndmask_b32 v2, v11, v12 :: v_dual_add_nc_u32 v1, 32, v1
	v_cmp_ge_i32_e32 vcc_lo, v8, v3
	s_delay_alu instid0(VALU_DEP_4) | instskip(NEXT) | instid1(VALU_DEP_1)
	v_add_co_u32 v11, s2, s8, v9
	v_add_co_ci_u32_e64 v12, s2, s9, v10, s2
	s_delay_alu instid0(VALU_DEP_4) | instskip(SKIP_2) | instid1(VALU_DEP_1)
	v_subrev_nc_u32_e32 v14, s4, v2
	v_cmp_le_u32_e64 s2, s4, v2
	s_or_b32 s5, vcc_lo, s5
	v_cndmask_b32_e64 v2, v2, v14, s2
	v_add_co_u32 v9, s2, s10, v9
	s_delay_alu instid0(VALU_DEP_1) | instskip(NEXT) | instid1(VALU_DEP_3)
	v_add_co_ci_u32_e64 v10, s2, s11, v10, s2
	v_mad_u64_u32 v[13:14], null, v16, s6, v[2:3]
	v_lshl_add_u32 v2, v16, 5, v15
	global_store_b32 v[9:10], v2, off
	global_store_b32 v[11:12], v13, off
	s_and_not1_b32 exec_lo, exec_lo, s5
	s_cbranch_execnz .LBB5_13
.LBB5_14:
	s_set_inst_prefetch_distance 0x2
	s_or_b32 exec_lo, exec_lo, s3
	s_delay_alu instid0(SALU_CYCLE_1)
	s_mov_b32 s2, exec_lo
	v_cmpx_eq_u32_e32 0, v0
	s_cbranch_execz .LBB5_17
; %bb.15:
	s_load_b32 s0, s[0:1], 0x38
	s_ashr_i32 s13, s12, 31
	s_waitcnt lgkmcnt(0)
	v_dual_mov_b32 v1, 0 :: v_dual_add_nc_u32 v0, v6, v5
	s_lshl_b64 s[2:3], s[12:13], 2
	s_delay_alu instid0(SALU_CYCLE_1) | instskip(SKIP_3) | instid1(SALU_CYCLE_1)
	s_add_u32 s2, s14, s2
	s_addc_u32 s3, s15, s3
	global_store_b32 v1, v0, s[2:3]
	s_add_i32 s1, s0, -1
	s_cmp_lt_i32 s12, s1
	s_cbranch_scc1 .LBB5_17
; %bb.16:
	s_mov_b32 s1, 0
	v_add_nc_u32_e32 v0, v0, v3
	s_lshl_b64 s[0:1], s[0:1], 2
	s_delay_alu instid0(SALU_CYCLE_1)
	s_add_u32 s0, s14, s0
	s_addc_u32 s1, s15, s1
	global_store_b32 v1, v0, s[0:1]
.LBB5_17:
	s_nop 0
	s_sendmsg sendmsg(MSG_DEALLOC_VGPRS)
	s_endpgm
	.section	.rodata,"a",@progbits
	.p2align	6, 0x0
	.amdhsa_kernel _ZL13mm_ids_helperILi32EEvPKiPiS2_S2_iiiii
		.amdhsa_group_segment_fixed_size 0
		.amdhsa_private_segment_fixed_size 0
		.amdhsa_kernarg_size 312
		.amdhsa_user_sgpr_count 15
		.amdhsa_user_sgpr_dispatch_ptr 0
		.amdhsa_user_sgpr_queue_ptr 0
		.amdhsa_user_sgpr_kernarg_segment_ptr 1
		.amdhsa_user_sgpr_dispatch_id 0
		.amdhsa_user_sgpr_private_segment_size 0
		.amdhsa_wavefront_size32 1
		.amdhsa_uses_dynamic_stack 0
		.amdhsa_enable_private_segment 0
		.amdhsa_system_sgpr_workgroup_id_x 1
		.amdhsa_system_sgpr_workgroup_id_y 0
		.amdhsa_system_sgpr_workgroup_id_z 0
		.amdhsa_system_sgpr_workgroup_info 0
		.amdhsa_system_vgpr_workitem_id 0
		.amdhsa_next_free_vgpr 17
		.amdhsa_next_free_sgpr 18
		.amdhsa_reserve_vcc 1
		.amdhsa_float_round_mode_32 0
		.amdhsa_float_round_mode_16_64 0
		.amdhsa_float_denorm_mode_32 3
		.amdhsa_float_denorm_mode_16_64 3
		.amdhsa_dx10_clamp 1
		.amdhsa_ieee_mode 1
		.amdhsa_fp16_overflow 0
		.amdhsa_workgroup_processor_mode 1
		.amdhsa_memory_ordered 1
		.amdhsa_forward_progress 0
		.amdhsa_shared_vgpr_count 0
		.amdhsa_exception_fp_ieee_invalid_op 0
		.amdhsa_exception_fp_denorm_src 0
		.amdhsa_exception_fp_ieee_div_zero 0
		.amdhsa_exception_fp_ieee_overflow 0
		.amdhsa_exception_fp_ieee_underflow 0
		.amdhsa_exception_fp_ieee_inexact 0
		.amdhsa_exception_int_div_zero 0
	.end_amdhsa_kernel
	.section	.text._ZL13mm_ids_helperILi32EEvPKiPiS2_S2_iiiii,"axG",@progbits,_ZL13mm_ids_helperILi32EEvPKiPiS2_S2_iiiii,comdat
.Lfunc_end5:
	.size	_ZL13mm_ids_helperILi32EEvPKiPiS2_S2_iiiii, .Lfunc_end5-_ZL13mm_ids_helperILi32EEvPKiPiS2_S2_iiiii
                                        ; -- End function
	.section	.AMDGPU.csdata,"",@progbits
; Kernel info:
; codeLenInByte = 1016
; NumSgprs: 20
; NumVgprs: 17
; ScratchSize: 0
; MemoryBound: 0
; FloatMode: 240
; IeeeMode: 1
; LDSByteSize: 0 bytes/workgroup (compile time only)
; SGPRBlocks: 2
; VGPRBlocks: 2
; NumSGPRsForWavesPerEU: 20
; NumVGPRsForWavesPerEU: 17
; Occupancy: 16
; WaveLimiterHint : 0
; COMPUTE_PGM_RSRC2:SCRATCH_EN: 0
; COMPUTE_PGM_RSRC2:USER_SGPR: 15
; COMPUTE_PGM_RSRC2:TRAP_HANDLER: 0
; COMPUTE_PGM_RSRC2:TGID_X_EN: 1
; COMPUTE_PGM_RSRC2:TGID_Y_EN: 0
; COMPUTE_PGM_RSRC2:TGID_Z_EN: 0
; COMPUTE_PGM_RSRC2:TIDIG_COMP_CNT: 0
	.section	.text._ZL13mm_ids_helperILi0EEvPKiPiS2_S2_iiiii,"axG",@progbits,_ZL13mm_ids_helperILi0EEvPKiPiS2_S2_iiiii,comdat
	.globl	_ZL13mm_ids_helperILi0EEvPKiPiS2_S2_iiiii ; -- Begin function _ZL13mm_ids_helperILi0EEvPKiPiS2_S2_iiiii
	.p2align	8
	.type	_ZL13mm_ids_helperILi0EEvPKiPiS2_S2_iiiii,@function
_ZL13mm_ids_helperILi0EEvPKiPiS2_S2_iiiii: ; @_ZL13mm_ids_helperILi0EEvPKiPiS2_S2_iiiii
; %bb.0:
	s_mov_b32 s14, s15
	s_clause 0x3
	s_load_b128 s[4:7], s[0:1], 0x20
	s_load_b128 s[8:11], s[0:1], 0x8
	s_load_b64 s[12:13], s[0:1], 0x18
	s_load_b32 s15, s[0:1], 0x30
	v_mov_b32_e32 v4, 0
	s_mov_b32 s18, 0
	s_waitcnt lgkmcnt(0)
	s_cmp_lt_i32 s4, 1
	s_cbranch_scc1 .LBB6_9
; %bb.1:
	s_load_b64 s[16:17], s[0:1], 0x0
	v_cmp_gt_i32_e32 vcc_lo, s5, v0
	v_dual_mov_b32 v4, 0 :: v_dual_mov_b32 v1, v0
	s_mov_b32 s19, 0
	s_branch .LBB6_3
.LBB6_2:                                ;   in Loop: Header=BB6_3 Depth=1
	s_or_b32 exec_lo, exec_lo, s3
	v_cndmask_b32_e64 v2, 0, 1, s2
	;;#ASMSTART
	;;#ASMEND
	s_delay_alu instid0(VALU_DEP_1) | instskip(SKIP_1) | instid1(VALU_DEP_2)
	v_cmp_ne_u32_e64 s2, 0, v2
	v_add_nc_u32_e32 v1, s7, v1
	s_cmp_lg_u32 s2, 0
	s_cselect_b32 s2, -1, 0
	s_delay_alu instid0(SALU_CYCLE_1) | instskip(SKIP_2) | instid1(SALU_CYCLE_1)
	s_cmp_lg_u32 s2, 0
	s_addc_u32 s18, s18, 0
	s_add_i32 s19, s19, 1
	s_cmp_eq_u32 s19, s4
	s_cbranch_scc1 .LBB6_9
.LBB6_3:                                ; =>This Loop Header: Depth=1
                                        ;     Child Loop BB6_5 Depth 2
	v_mov_b32_e32 v5, -1
	s_and_saveexec_b32 s20, vcc_lo
	s_cbranch_execz .LBB6_7
; %bb.4:                                ;   in Loop: Header=BB6_3 Depth=1
	v_ashrrev_i32_e32 v2, 31, v1
	v_dual_mov_b32 v5, -1 :: v_dual_mov_b32 v6, v0
	s_mov_b32 s21, 0
	s_delay_alu instid0(VALU_DEP_2) | instskip(SKIP_1) | instid1(VALU_DEP_1)
	v_lshlrev_b64 v[2:3], 2, v[1:2]
	s_waitcnt lgkmcnt(0)
	v_add_co_u32 v2, s2, s16, v2
	s_delay_alu instid0(VALU_DEP_1)
	v_add_co_ci_u32_e64 v3, s2, s17, v3, s2
	.p2align	6
.LBB6_5:                                ;   Parent Loop BB6_3 Depth=1
                                        ; =>  This Inner Loop Header: Depth=2
	global_load_b32 v7, v[2:3], off
	s_waitcnt vmcnt(0)
	v_cmp_eq_u32_e64 s2, s14, v7
	v_cmp_gt_i32_e64 s3, s14, v7
	s_delay_alu instid0(VALU_DEP_2) | instskip(SKIP_2) | instid1(VALU_DEP_1)
	v_cndmask_b32_e64 v5, v5, v6, s2
	v_add_nc_u32_e32 v6, 32, v6
	v_add_co_u32 v2, s2, 0x80, v2
	v_add_co_ci_u32_e64 v3, s2, 0, v3, s2
	s_delay_alu instid0(VALU_DEP_3) | instskip(SKIP_1) | instid1(VALU_DEP_2)
	v_cmp_le_i32_e64 s2, s5, v6
	v_add_co_ci_u32_e64 v4, s3, 0, v4, s3
	s_or_b32 s21, s2, s21
	s_delay_alu instid0(SALU_CYCLE_1)
	s_and_not1_b32 exec_lo, exec_lo, s21
	s_cbranch_execnz .LBB6_5
; %bb.6:                                ;   in Loop: Header=BB6_3 Depth=1
	s_or_b32 exec_lo, exec_lo, s21
.LBB6_7:                                ;   in Loop: Header=BB6_3 Depth=1
	s_delay_alu instid0(SALU_CYCLE_1) | instskip(NEXT) | instid1(VALU_DEP_1)
	s_or_b32 exec_lo, exec_lo, s20
	v_cmp_ne_u32_e64 s2, -1, v5
	s_delay_alu instid0(VALU_DEP_1)
	s_and_saveexec_b32 s3, s2
	s_cbranch_execz .LBB6_2
; %bb.8:                                ;   in Loop: Header=BB6_3 Depth=1
	s_lshl_b32 s20, s18, 2
	s_and_b32 s21, s19, 0x3fffff
	s_add_i32 s20, s20, 0
	v_lshl_or_b32 v2, v5, 22, s21
	v_mov_b32_e32 v3, s20
	ds_store_b32 v3, v2
	s_branch .LBB6_2
.LBB6_9:
	v_mbcnt_lo_u32_b32 v3, -1, 0
	s_mov_b32 s4, 0
	s_mov_b32 s3, exec_lo
	s_delay_alu instid0(VALU_DEP_1)
	v_xor_b32_e32 v1, 16, v3
	v_xor_b32_e32 v2, 8, v3
	;; [unrolled: 1-line block ×5, first 2 shown]
	v_cmp_gt_i32_e32 vcc_lo, 32, v1
	v_cndmask_b32_e32 v1, v3, v1, vcc_lo
	v_cmp_gt_i32_e32 vcc_lo, 32, v2
	v_cndmask_b32_e32 v2, v3, v2, vcc_lo
	v_cmp_gt_i32_e32 vcc_lo, 32, v6
	s_delay_alu instid0(VALU_DEP_2)
	v_lshlrev_b32_e32 v2, 2, v2
	v_dual_cndmask_b32 v6, v3, v6 :: v_dual_lshlrev_b32 v1, 2, v1
	v_cmp_gt_i32_e32 vcc_lo, 32, v7
	ds_bpermute_b32 v1, v1, v4
	v_dual_cndmask_b32 v7, v3, v7 :: v_dual_lshlrev_b32 v6, 2, v6
	v_cmp_gt_i32_e32 vcc_lo, 32, v8
	s_delay_alu instid0(VALU_DEP_2)
	v_dual_cndmask_b32 v8, v3, v8 :: v_dual_lshlrev_b32 v7, 2, v7
	s_waitcnt lgkmcnt(0)
	v_add_nc_u32_e32 v5, v1, v4
	ds_bpermute_b32 v2, v2, v5
	s_waitcnt lgkmcnt(0)
	v_add_nc_u32_e32 v5, v2, v5
	ds_bpermute_b32 v6, v6, v5
	;; [unrolled: 3-line block ×3, first 2 shown]
	s_waitcnt lgkmcnt(0)
	v_add_nc_u32_e32 v3, v7, v5
	v_lshlrev_b32_e32 v5, 2, v8
	ds_bpermute_b32 v5, v5, v3
	v_cmpx_gt_i32_e64 s18, v0
	s_cbranch_execz .LBB6_12
; %bb.10:
	s_abs_i32 s6, s6
	v_add3_u32 v1, v1, v2, v6
	v_cvt_f32_u32_e32 v8, s6
	s_sub_i32 s2, 0, s6
	v_lshl_add_u32 v6, v0, 2, 0
	s_waitcnt lgkmcnt(0)
	v_add3_u32 v1, v1, v7, v5
	v_rcp_iflag_f32_e32 v8, v8
	v_mov_b32_e32 v7, v0
	s_delay_alu instid0(VALU_DEP_2) | instskip(SKIP_2) | instid1(VALU_DEP_1)
	v_add3_u32 v1, v1, v0, v4
	s_waitcnt_depctr 0xfff
	v_mul_f32_e32 v8, 0x4f7ffffe, v8
	v_cvt_u32_f32_e32 v8, v8
	s_delay_alu instid0(VALU_DEP_1) | instskip(NEXT) | instid1(VALU_DEP_1)
	v_mul_lo_u32 v9, s2, v8
	v_mul_hi_u32 v2, v8, v9
	s_delay_alu instid0(VALU_DEP_1)
	v_add_nc_u32_e32 v4, v8, v2
	s_set_inst_prefetch_distance 0x1
	.p2align	6
.LBB6_11:                               ; =>This Inner Loop Header: Depth=1
	ds_load_b32 v13, v6
	v_add_nc_u32_e32 v6, 0x80, v6
	s_waitcnt lgkmcnt(0)
	v_lshrrev_b32_e32 v8, 22, v13
	v_and_b32_e32 v16, 0x3fffff, v13
	s_delay_alu instid0(VALU_DEP_2) | instskip(NEXT) | instid1(VALU_DEP_1)
	v_mul_hi_u32 v2, v8, v4
	v_mul_lo_u32 v2, v2, s6
	s_delay_alu instid0(VALU_DEP_1) | instskip(SKIP_1) | instid1(VALU_DEP_2)
	v_sub_nc_u32_e32 v11, v8, v2
	v_ashrrev_i32_e32 v2, 31, v1
	v_subrev_nc_u32_e32 v12, s6, v11
	v_cmp_le_u32_e32 vcc_lo, s6, v11
	s_delay_alu instid0(VALU_DEP_3) | instskip(SKIP_1) | instid1(VALU_DEP_4)
	v_lshlrev_b64 v[9:10], 2, v[1:2]
	v_add_nc_u32_e32 v7, 32, v7
	v_dual_cndmask_b32 v2, v11, v12 :: v_dual_add_nc_u32 v1, 32, v1
	s_delay_alu instid0(VALU_DEP_3) | instskip(NEXT) | instid1(VALU_DEP_1)
	v_add_co_u32 v11, s2, s10, v9
	v_add_co_ci_u32_e64 v12, s2, s11, v10, s2
	s_delay_alu instid0(VALU_DEP_3) | instskip(SKIP_2) | instid1(VALU_DEP_2)
	v_subrev_nc_u32_e32 v14, s6, v2
	v_cmp_le_u32_e64 s2, s6, v2
	v_cmp_le_i32_e32 vcc_lo, s18, v7
	v_cndmask_b32_e64 v2, v2, v14, s2
	v_mad_u64_u32 v[13:14], null, v16, s5, v[8:9]
	v_add_co_u32 v8, s2, s8, v9
	s_delay_alu instid0(VALU_DEP_3)
	v_mad_u64_u32 v[14:15], null, v16, s15, v[2:3]
	v_add_co_ci_u32_e64 v9, s2, s9, v10, s2
	s_or_b32 s4, vcc_lo, s4
	global_store_b32 v[11:12], v13, off
	global_store_b32 v[8:9], v14, off
	s_and_not1_b32 exec_lo, exec_lo, s4
	s_cbranch_execnz .LBB6_11
.LBB6_12:
	s_set_inst_prefetch_distance 0x2
	s_or_b32 exec_lo, exec_lo, s3
	s_delay_alu instid0(SALU_CYCLE_1)
	s_mov_b32 s2, exec_lo
	v_cmpx_eq_u32_e32 0, v0
	s_cbranch_execz .LBB6_15
; %bb.13:
	s_load_b32 s0, s[0:1], 0x38
	s_ashr_i32 s15, s14, 31
	s_waitcnt lgkmcnt(0)
	v_dual_mov_b32 v1, 0 :: v_dual_add_nc_u32 v0, v5, v3
	s_lshl_b64 s[2:3], s[14:15], 2
	s_delay_alu instid0(SALU_CYCLE_1) | instskip(SKIP_3) | instid1(SALU_CYCLE_1)
	s_add_u32 s2, s12, s2
	s_addc_u32 s3, s13, s3
	global_store_b32 v1, v0, s[2:3]
	s_add_i32 s1, s0, -1
	s_cmp_lt_i32 s14, s1
	s_cbranch_scc1 .LBB6_15
; %bb.14:
	s_mov_b32 s1, 0
	v_add_nc_u32_e32 v0, s18, v0
	s_lshl_b64 s[0:1], s[0:1], 2
	s_delay_alu instid0(SALU_CYCLE_1)
	s_add_u32 s0, s12, s0
	s_addc_u32 s1, s13, s1
	global_store_b32 v1, v0, s[0:1]
.LBB6_15:
	s_nop 0
	s_sendmsg sendmsg(MSG_DEALLOC_VGPRS)
	s_endpgm
	.section	.rodata,"a",@progbits
	.p2align	6, 0x0
	.amdhsa_kernel _ZL13mm_ids_helperILi0EEvPKiPiS2_S2_iiiii
		.amdhsa_group_segment_fixed_size 0
		.amdhsa_private_segment_fixed_size 0
		.amdhsa_kernarg_size 312
		.amdhsa_user_sgpr_count 15
		.amdhsa_user_sgpr_dispatch_ptr 0
		.amdhsa_user_sgpr_queue_ptr 0
		.amdhsa_user_sgpr_kernarg_segment_ptr 1
		.amdhsa_user_sgpr_dispatch_id 0
		.amdhsa_user_sgpr_private_segment_size 0
		.amdhsa_wavefront_size32 1
		.amdhsa_uses_dynamic_stack 0
		.amdhsa_enable_private_segment 0
		.amdhsa_system_sgpr_workgroup_id_x 1
		.amdhsa_system_sgpr_workgroup_id_y 0
		.amdhsa_system_sgpr_workgroup_id_z 0
		.amdhsa_system_sgpr_workgroup_info 0
		.amdhsa_system_vgpr_workitem_id 0
		.amdhsa_next_free_vgpr 17
		.amdhsa_next_free_sgpr 22
		.amdhsa_reserve_vcc 1
		.amdhsa_float_round_mode_32 0
		.amdhsa_float_round_mode_16_64 0
		.amdhsa_float_denorm_mode_32 3
		.amdhsa_float_denorm_mode_16_64 3
		.amdhsa_dx10_clamp 1
		.amdhsa_ieee_mode 1
		.amdhsa_fp16_overflow 0
		.amdhsa_workgroup_processor_mode 1
		.amdhsa_memory_ordered 1
		.amdhsa_forward_progress 0
		.amdhsa_shared_vgpr_count 0
		.amdhsa_exception_fp_ieee_invalid_op 0
		.amdhsa_exception_fp_denorm_src 0
		.amdhsa_exception_fp_ieee_div_zero 0
		.amdhsa_exception_fp_ieee_overflow 0
		.amdhsa_exception_fp_ieee_underflow 0
		.amdhsa_exception_fp_ieee_inexact 0
		.amdhsa_exception_int_div_zero 0
	.end_amdhsa_kernel
	.section	.text._ZL13mm_ids_helperILi0EEvPKiPiS2_S2_iiiii,"axG",@progbits,_ZL13mm_ids_helperILi0EEvPKiPiS2_S2_iiiii,comdat
.Lfunc_end6:
	.size	_ZL13mm_ids_helperILi0EEvPKiPiS2_S2_iiiii, .Lfunc_end6-_ZL13mm_ids_helperILi0EEvPKiPiS2_S2_iiiii
                                        ; -- End function
	.section	.AMDGPU.csdata,"",@progbits
; Kernel info:
; codeLenInByte = 1020
; NumSgprs: 24
; NumVgprs: 17
; ScratchSize: 0
; MemoryBound: 0
; FloatMode: 240
; IeeeMode: 1
; LDSByteSize: 0 bytes/workgroup (compile time only)
; SGPRBlocks: 2
; VGPRBlocks: 2
; NumSGPRsForWavesPerEU: 24
; NumVGPRsForWavesPerEU: 17
; Occupancy: 16
; WaveLimiterHint : 0
; COMPUTE_PGM_RSRC2:SCRATCH_EN: 0
; COMPUTE_PGM_RSRC2:USER_SGPR: 15
; COMPUTE_PGM_RSRC2:TRAP_HANDLER: 0
; COMPUTE_PGM_RSRC2:TGID_X_EN: 1
; COMPUTE_PGM_RSRC2:TGID_Y_EN: 0
; COMPUTE_PGM_RSRC2:TGID_Z_EN: 0
; COMPUTE_PGM_RSRC2:TIDIG_COMP_CNT: 0
	.text
	.p2alignl 7, 3214868480
	.fill 96, 4, 3214868480
	.type	__hip_cuid_18e5d1b1ff903687,@object ; @__hip_cuid_18e5d1b1ff903687
	.section	.bss,"aw",@nobits
	.globl	__hip_cuid_18e5d1b1ff903687
__hip_cuid_18e5d1b1ff903687:
	.byte	0                               ; 0x0
	.size	__hip_cuid_18e5d1b1ff903687, 1

	.ident	"AMD clang version 19.0.0git (https://github.com/RadeonOpenCompute/llvm-project roc-6.4.0 25133 c7fe45cf4b819c5991fe208aaa96edf142730f1d)"
	.section	".note.GNU-stack","",@progbits
	.addrsig
	.addrsig_sym __hip_cuid_18e5d1b1ff903687
	.amdgpu_metadata
---
amdhsa.kernels:
  - .args:
      - .actual_access:  read_only
        .address_space:  global
        .offset:         0
        .size:           8
        .value_kind:     global_buffer
      - .actual_access:  write_only
        .address_space:  global
        .offset:         8
        .size:           8
        .value_kind:     global_buffer
      - .actual_access:  write_only
        .address_space:  global
        .offset:         16
        .size:           8
        .value_kind:     global_buffer
      - .actual_access:  write_only
        .address_space:  global
        .offset:         24
        .size:           8
        .value_kind:     global_buffer
      - .offset:         32
        .size:           4
        .value_kind:     by_value
      - .offset:         36
        .size:           4
        .value_kind:     by_value
      - .offset:         40
        .size:           4
        .value_kind:     by_value
      - .offset:         44
        .size:           4
        .value_kind:     by_value
      - .offset:         48
        .size:           4
        .value_kind:     by_value
      - .offset:         56
        .size:           4
        .value_kind:     hidden_block_count_x
      - .offset:         60
        .size:           4
        .value_kind:     hidden_block_count_y
      - .offset:         64
        .size:           4
        .value_kind:     hidden_block_count_z
      - .offset:         68
        .size:           2
        .value_kind:     hidden_group_size_x
      - .offset:         70
        .size:           2
        .value_kind:     hidden_group_size_y
      - .offset:         72
        .size:           2
        .value_kind:     hidden_group_size_z
      - .offset:         74
        .size:           2
        .value_kind:     hidden_remainder_x
      - .offset:         76
        .size:           2
        .value_kind:     hidden_remainder_y
      - .offset:         78
        .size:           2
        .value_kind:     hidden_remainder_z
      - .offset:         96
        .size:           8
        .value_kind:     hidden_global_offset_x
      - .offset:         104
        .size:           8
        .value_kind:     hidden_global_offset_y
      - .offset:         112
        .size:           8
        .value_kind:     hidden_global_offset_z
      - .offset:         120
        .size:           2
        .value_kind:     hidden_grid_dims
      - .offset:         176
        .size:           4
        .value_kind:     hidden_dynamic_lds_size
    .group_segment_fixed_size: 0
    .kernarg_segment_align: 8
    .kernarg_segment_size: 312
    .language:       OpenCL C
    .language_version:
      - 2
      - 0
    .max_flat_workgroup_size: 32
    .name:           _ZL13mm_ids_helperILi2EEvPKiPiS2_S2_iiiii
    .private_segment_fixed_size: 0
    .sgpr_count:     34
    .sgpr_spill_count: 0
    .symbol:         _ZL13mm_ids_helperILi2EEvPKiPiS2_S2_iiiii.kd
    .uniform_work_group_size: 1
    .uses_dynamic_stack: false
    .vgpr_count:     42
    .vgpr_spill_count: 0
    .wavefront_size: 32
    .workgroup_processor_mode: 1
  - .args:
      - .actual_access:  read_only
        .address_space:  global
        .offset:         0
        .size:           8
        .value_kind:     global_buffer
      - .actual_access:  write_only
        .address_space:  global
        .offset:         8
        .size:           8
        .value_kind:     global_buffer
      - .actual_access:  write_only
        .address_space:  global
        .offset:         16
        .size:           8
        .value_kind:     global_buffer
      - .actual_access:  write_only
        .address_space:  global
        .offset:         24
        .size:           8
        .value_kind:     global_buffer
      - .offset:         32
        .size:           4
        .value_kind:     by_value
      - .offset:         36
        .size:           4
        .value_kind:     by_value
      - .offset:         40
        .size:           4
        .value_kind:     by_value
      - .offset:         44
        .size:           4
        .value_kind:     by_value
      - .offset:         48
        .size:           4
        .value_kind:     by_value
      - .offset:         56
        .size:           4
        .value_kind:     hidden_block_count_x
      - .offset:         60
        .size:           4
        .value_kind:     hidden_block_count_y
      - .offset:         64
        .size:           4
        .value_kind:     hidden_block_count_z
      - .offset:         68
        .size:           2
        .value_kind:     hidden_group_size_x
      - .offset:         70
        .size:           2
        .value_kind:     hidden_group_size_y
      - .offset:         72
        .size:           2
        .value_kind:     hidden_group_size_z
      - .offset:         74
        .size:           2
        .value_kind:     hidden_remainder_x
      - .offset:         76
        .size:           2
        .value_kind:     hidden_remainder_y
      - .offset:         78
        .size:           2
        .value_kind:     hidden_remainder_z
      - .offset:         96
        .size:           8
        .value_kind:     hidden_global_offset_x
      - .offset:         104
        .size:           8
        .value_kind:     hidden_global_offset_y
      - .offset:         112
        .size:           8
        .value_kind:     hidden_global_offset_z
      - .offset:         120
        .size:           2
        .value_kind:     hidden_grid_dims
      - .offset:         176
        .size:           4
        .value_kind:     hidden_dynamic_lds_size
    .group_segment_fixed_size: 0
    .kernarg_segment_align: 8
    .kernarg_segment_size: 312
    .language:       OpenCL C
    .language_version:
      - 2
      - 0
    .max_flat_workgroup_size: 32
    .name:           _ZL13mm_ids_helperILi4EEvPKiPiS2_S2_iiiii
    .private_segment_fixed_size: 0
    .sgpr_count:     26
    .sgpr_spill_count: 0
    .symbol:         _ZL13mm_ids_helperILi4EEvPKiPiS2_S2_iiiii.kd
    .uniform_work_group_size: 1
    .uses_dynamic_stack: false
    .vgpr_count:     30
    .vgpr_spill_count: 0
    .wavefront_size: 32
    .workgroup_processor_mode: 1
  - .args:
      - .actual_access:  read_only
        .address_space:  global
        .offset:         0
        .size:           8
        .value_kind:     global_buffer
      - .actual_access:  write_only
        .address_space:  global
        .offset:         8
        .size:           8
        .value_kind:     global_buffer
      - .actual_access:  write_only
        .address_space:  global
        .offset:         16
        .size:           8
        .value_kind:     global_buffer
      - .actual_access:  write_only
        .address_space:  global
        .offset:         24
        .size:           8
        .value_kind:     global_buffer
      - .offset:         32
        .size:           4
        .value_kind:     by_value
      - .offset:         36
        .size:           4
        .value_kind:     by_value
      - .offset:         40
        .size:           4
        .value_kind:     by_value
      - .offset:         44
        .size:           4
        .value_kind:     by_value
      - .offset:         48
        .size:           4
        .value_kind:     by_value
      - .offset:         56
        .size:           4
        .value_kind:     hidden_block_count_x
      - .offset:         60
        .size:           4
        .value_kind:     hidden_block_count_y
      - .offset:         64
        .size:           4
        .value_kind:     hidden_block_count_z
      - .offset:         68
        .size:           2
        .value_kind:     hidden_group_size_x
      - .offset:         70
        .size:           2
        .value_kind:     hidden_group_size_y
      - .offset:         72
        .size:           2
        .value_kind:     hidden_group_size_z
      - .offset:         74
        .size:           2
        .value_kind:     hidden_remainder_x
      - .offset:         76
        .size:           2
        .value_kind:     hidden_remainder_y
      - .offset:         78
        .size:           2
        .value_kind:     hidden_remainder_z
      - .offset:         96
        .size:           8
        .value_kind:     hidden_global_offset_x
      - .offset:         104
        .size:           8
        .value_kind:     hidden_global_offset_y
      - .offset:         112
        .size:           8
        .value_kind:     hidden_global_offset_z
      - .offset:         120
        .size:           2
        .value_kind:     hidden_grid_dims
      - .offset:         176
        .size:           4
        .value_kind:     hidden_dynamic_lds_size
    .group_segment_fixed_size: 0
    .kernarg_segment_align: 8
    .kernarg_segment_size: 312
    .language:       OpenCL C
    .language_version:
      - 2
      - 0
    .max_flat_workgroup_size: 32
    .name:           _ZL13mm_ids_helperILi6EEvPKiPiS2_S2_iiiii
    .private_segment_fixed_size: 0
    .sgpr_count:     24
    .sgpr_spill_count: 0
    .symbol:         _ZL13mm_ids_helperILi6EEvPKiPiS2_S2_iiiii.kd
    .uniform_work_group_size: 1
    .uses_dynamic_stack: false
    .vgpr_count:     24
    .vgpr_spill_count: 0
    .wavefront_size: 32
    .workgroup_processor_mode: 1
  - .args:
      - .actual_access:  read_only
        .address_space:  global
        .offset:         0
        .size:           8
        .value_kind:     global_buffer
      - .actual_access:  write_only
        .address_space:  global
        .offset:         8
        .size:           8
        .value_kind:     global_buffer
      - .actual_access:  write_only
        .address_space:  global
        .offset:         16
        .size:           8
        .value_kind:     global_buffer
      - .actual_access:  write_only
        .address_space:  global
        .offset:         24
        .size:           8
        .value_kind:     global_buffer
      - .offset:         32
        .size:           4
        .value_kind:     by_value
      - .offset:         36
        .size:           4
        .value_kind:     by_value
      - .offset:         40
        .size:           4
        .value_kind:     by_value
      - .offset:         44
        .size:           4
        .value_kind:     by_value
      - .offset:         48
        .size:           4
        .value_kind:     by_value
      - .offset:         56
        .size:           4
        .value_kind:     hidden_block_count_x
      - .offset:         60
        .size:           4
        .value_kind:     hidden_block_count_y
      - .offset:         64
        .size:           4
        .value_kind:     hidden_block_count_z
      - .offset:         68
        .size:           2
        .value_kind:     hidden_group_size_x
      - .offset:         70
        .size:           2
        .value_kind:     hidden_group_size_y
      - .offset:         72
        .size:           2
        .value_kind:     hidden_group_size_z
      - .offset:         74
        .size:           2
        .value_kind:     hidden_remainder_x
      - .offset:         76
        .size:           2
        .value_kind:     hidden_remainder_y
      - .offset:         78
        .size:           2
        .value_kind:     hidden_remainder_z
      - .offset:         96
        .size:           8
        .value_kind:     hidden_global_offset_x
      - .offset:         104
        .size:           8
        .value_kind:     hidden_global_offset_y
      - .offset:         112
        .size:           8
        .value_kind:     hidden_global_offset_z
      - .offset:         120
        .size:           2
        .value_kind:     hidden_grid_dims
      - .offset:         176
        .size:           4
        .value_kind:     hidden_dynamic_lds_size
    .group_segment_fixed_size: 0
    .kernarg_segment_align: 8
    .kernarg_segment_size: 312
    .language:       OpenCL C
    .language_version:
      - 2
      - 0
    .max_flat_workgroup_size: 32
    .name:           _ZL13mm_ids_helperILi8EEvPKiPiS2_S2_iiiii
    .private_segment_fixed_size: 0
    .sgpr_count:     22
    .sgpr_spill_count: 0
    .symbol:         _ZL13mm_ids_helperILi8EEvPKiPiS2_S2_iiiii.kd
    .uniform_work_group_size: 1
    .uses_dynamic_stack: false
    .vgpr_count:     24
    .vgpr_spill_count: 0
    .wavefront_size: 32
    .workgroup_processor_mode: 1
  - .args:
      - .actual_access:  read_only
        .address_space:  global
        .offset:         0
        .size:           8
        .value_kind:     global_buffer
      - .actual_access:  write_only
        .address_space:  global
        .offset:         8
        .size:           8
        .value_kind:     global_buffer
      - .actual_access:  write_only
        .address_space:  global
        .offset:         16
        .size:           8
        .value_kind:     global_buffer
      - .actual_access:  write_only
        .address_space:  global
        .offset:         24
        .size:           8
        .value_kind:     global_buffer
      - .offset:         32
        .size:           4
        .value_kind:     by_value
      - .offset:         36
        .size:           4
        .value_kind:     by_value
      - .offset:         40
        .size:           4
        .value_kind:     by_value
      - .offset:         44
        .size:           4
        .value_kind:     by_value
      - .offset:         48
        .size:           4
        .value_kind:     by_value
      - .offset:         56
        .size:           4
        .value_kind:     hidden_block_count_x
      - .offset:         60
        .size:           4
        .value_kind:     hidden_block_count_y
      - .offset:         64
        .size:           4
        .value_kind:     hidden_block_count_z
      - .offset:         68
        .size:           2
        .value_kind:     hidden_group_size_x
      - .offset:         70
        .size:           2
        .value_kind:     hidden_group_size_y
      - .offset:         72
        .size:           2
        .value_kind:     hidden_group_size_z
      - .offset:         74
        .size:           2
        .value_kind:     hidden_remainder_x
      - .offset:         76
        .size:           2
        .value_kind:     hidden_remainder_y
      - .offset:         78
        .size:           2
        .value_kind:     hidden_remainder_z
      - .offset:         96
        .size:           8
        .value_kind:     hidden_global_offset_x
      - .offset:         104
        .size:           8
        .value_kind:     hidden_global_offset_y
      - .offset:         112
        .size:           8
        .value_kind:     hidden_global_offset_z
      - .offset:         120
        .size:           2
        .value_kind:     hidden_grid_dims
      - .offset:         176
        .size:           4
        .value_kind:     hidden_dynamic_lds_size
    .group_segment_fixed_size: 0
    .kernarg_segment_align: 8
    .kernarg_segment_size: 312
    .language:       OpenCL C
    .language_version:
      - 2
      - 0
    .max_flat_workgroup_size: 32
    .name:           _ZL13mm_ids_helperILi16EEvPKiPiS2_S2_iiiii
    .private_segment_fixed_size: 0
    .sgpr_count:     20
    .sgpr_spill_count: 0
    .symbol:         _ZL13mm_ids_helperILi16EEvPKiPiS2_S2_iiiii.kd
    .uniform_work_group_size: 1
    .uses_dynamic_stack: false
    .vgpr_count:     24
    .vgpr_spill_count: 0
    .wavefront_size: 32
    .workgroup_processor_mode: 1
  - .args:
      - .actual_access:  read_only
        .address_space:  global
        .offset:         0
        .size:           8
        .value_kind:     global_buffer
      - .actual_access:  write_only
        .address_space:  global
        .offset:         8
        .size:           8
        .value_kind:     global_buffer
      - .actual_access:  write_only
        .address_space:  global
        .offset:         16
        .size:           8
        .value_kind:     global_buffer
      - .actual_access:  write_only
        .address_space:  global
        .offset:         24
        .size:           8
        .value_kind:     global_buffer
      - .offset:         32
        .size:           4
        .value_kind:     by_value
      - .offset:         36
        .size:           4
        .value_kind:     by_value
      - .offset:         40
        .size:           4
        .value_kind:     by_value
      - .offset:         44
        .size:           4
        .value_kind:     by_value
      - .offset:         48
        .size:           4
        .value_kind:     by_value
      - .offset:         56
        .size:           4
        .value_kind:     hidden_block_count_x
      - .offset:         60
        .size:           4
        .value_kind:     hidden_block_count_y
      - .offset:         64
        .size:           4
        .value_kind:     hidden_block_count_z
      - .offset:         68
        .size:           2
        .value_kind:     hidden_group_size_x
      - .offset:         70
        .size:           2
        .value_kind:     hidden_group_size_y
      - .offset:         72
        .size:           2
        .value_kind:     hidden_group_size_z
      - .offset:         74
        .size:           2
        .value_kind:     hidden_remainder_x
      - .offset:         76
        .size:           2
        .value_kind:     hidden_remainder_y
      - .offset:         78
        .size:           2
        .value_kind:     hidden_remainder_z
      - .offset:         96
        .size:           8
        .value_kind:     hidden_global_offset_x
      - .offset:         104
        .size:           8
        .value_kind:     hidden_global_offset_y
      - .offset:         112
        .size:           8
        .value_kind:     hidden_global_offset_z
      - .offset:         120
        .size:           2
        .value_kind:     hidden_grid_dims
      - .offset:         176
        .size:           4
        .value_kind:     hidden_dynamic_lds_size
    .group_segment_fixed_size: 0
    .kernarg_segment_align: 8
    .kernarg_segment_size: 312
    .language:       OpenCL C
    .language_version:
      - 2
      - 0
    .max_flat_workgroup_size: 32
    .name:           _ZL13mm_ids_helperILi32EEvPKiPiS2_S2_iiiii
    .private_segment_fixed_size: 0
    .sgpr_count:     20
    .sgpr_spill_count: 0
    .symbol:         _ZL13mm_ids_helperILi32EEvPKiPiS2_S2_iiiii.kd
    .uniform_work_group_size: 1
    .uses_dynamic_stack: false
    .vgpr_count:     17
    .vgpr_spill_count: 0
    .wavefront_size: 32
    .workgroup_processor_mode: 1
  - .args:
      - .actual_access:  read_only
        .address_space:  global
        .offset:         0
        .size:           8
        .value_kind:     global_buffer
      - .actual_access:  write_only
        .address_space:  global
        .offset:         8
        .size:           8
        .value_kind:     global_buffer
      - .actual_access:  write_only
        .address_space:  global
        .offset:         16
        .size:           8
        .value_kind:     global_buffer
      - .actual_access:  write_only
        .address_space:  global
        .offset:         24
        .size:           8
        .value_kind:     global_buffer
      - .offset:         32
        .size:           4
        .value_kind:     by_value
      - .offset:         36
        .size:           4
        .value_kind:     by_value
      - .offset:         40
        .size:           4
        .value_kind:     by_value
      - .offset:         44
        .size:           4
        .value_kind:     by_value
      - .offset:         48
        .size:           4
        .value_kind:     by_value
      - .offset:         56
        .size:           4
        .value_kind:     hidden_block_count_x
      - .offset:         60
        .size:           4
        .value_kind:     hidden_block_count_y
      - .offset:         64
        .size:           4
        .value_kind:     hidden_block_count_z
      - .offset:         68
        .size:           2
        .value_kind:     hidden_group_size_x
      - .offset:         70
        .size:           2
        .value_kind:     hidden_group_size_y
      - .offset:         72
        .size:           2
        .value_kind:     hidden_group_size_z
      - .offset:         74
        .size:           2
        .value_kind:     hidden_remainder_x
      - .offset:         76
        .size:           2
        .value_kind:     hidden_remainder_y
      - .offset:         78
        .size:           2
        .value_kind:     hidden_remainder_z
      - .offset:         96
        .size:           8
        .value_kind:     hidden_global_offset_x
      - .offset:         104
        .size:           8
        .value_kind:     hidden_global_offset_y
      - .offset:         112
        .size:           8
        .value_kind:     hidden_global_offset_z
      - .offset:         120
        .size:           2
        .value_kind:     hidden_grid_dims
      - .offset:         176
        .size:           4
        .value_kind:     hidden_dynamic_lds_size
    .group_segment_fixed_size: 0
    .kernarg_segment_align: 8
    .kernarg_segment_size: 312
    .language:       OpenCL C
    .language_version:
      - 2
      - 0
    .max_flat_workgroup_size: 32
    .name:           _ZL13mm_ids_helperILi0EEvPKiPiS2_S2_iiiii
    .private_segment_fixed_size: 0
    .sgpr_count:     24
    .sgpr_spill_count: 0
    .symbol:         _ZL13mm_ids_helperILi0EEvPKiPiS2_S2_iiiii.kd
    .uniform_work_group_size: 1
    .uses_dynamic_stack: false
    .vgpr_count:     17
    .vgpr_spill_count: 0
    .wavefront_size: 32
    .workgroup_processor_mode: 1
amdhsa.target:   amdgcn-amd-amdhsa--gfx1100
amdhsa.version:
  - 1
  - 2
...

	.end_amdgpu_metadata
